;; amdgpu-corpus repo=pytorch/pytorch kind=compiled arch=gfx942 opt=O3
	.text
	.amdgcn_target "amdgcn-amd-amdhsa--gfx942"
	.amdhsa_code_object_version 6
	.section	.text._ZN7rocprim17ROCPRIM_400000_NS6detail31init_lookback_scan_state_kernelINS1_19lookback_scan_stateIjLb0ELb1EEENS1_16block_id_wrapperIjLb0EEEEEvT_jT0_jPNS7_10value_typeE,"axG",@progbits,_ZN7rocprim17ROCPRIM_400000_NS6detail31init_lookback_scan_state_kernelINS1_19lookback_scan_stateIjLb0ELb1EEENS1_16block_id_wrapperIjLb0EEEEEvT_jT0_jPNS7_10value_typeE,comdat
	.protected	_ZN7rocprim17ROCPRIM_400000_NS6detail31init_lookback_scan_state_kernelINS1_19lookback_scan_stateIjLb0ELb1EEENS1_16block_id_wrapperIjLb0EEEEEvT_jT0_jPNS7_10value_typeE ; -- Begin function _ZN7rocprim17ROCPRIM_400000_NS6detail31init_lookback_scan_state_kernelINS1_19lookback_scan_stateIjLb0ELb1EEENS1_16block_id_wrapperIjLb0EEEEEvT_jT0_jPNS7_10value_typeE
	.globl	_ZN7rocprim17ROCPRIM_400000_NS6detail31init_lookback_scan_state_kernelINS1_19lookback_scan_stateIjLb0ELb1EEENS1_16block_id_wrapperIjLb0EEEEEvT_jT0_jPNS7_10value_typeE
	.p2align	8
	.type	_ZN7rocprim17ROCPRIM_400000_NS6detail31init_lookback_scan_state_kernelINS1_19lookback_scan_stateIjLb0ELb1EEENS1_16block_id_wrapperIjLb0EEEEEvT_jT0_jPNS7_10value_typeE,@function
_ZN7rocprim17ROCPRIM_400000_NS6detail31init_lookback_scan_state_kernelINS1_19lookback_scan_stateIjLb0ELb1EEENS1_16block_id_wrapperIjLb0EEEEEvT_jT0_jPNS7_10value_typeE: ; @_ZN7rocprim17ROCPRIM_400000_NS6detail31init_lookback_scan_state_kernelINS1_19lookback_scan_stateIjLb0ELb1EEENS1_16block_id_wrapperIjLb0EEEEEvT_jT0_jPNS7_10value_typeE
; %bb.0:
	s_load_dword s3, s[0:1], 0x2c
	s_load_dwordx2 s[6:7], s[0:1], 0x18
	s_load_dwordx2 s[4:5], s[0:1], 0x0
	s_load_dword s8, s[0:1], 0x8
	s_waitcnt lgkmcnt(0)
	s_and_b32 s3, s3, 0xffff
	s_mul_i32 s2, s2, s3
	s_cmp_eq_u64 s[6:7], 0
	v_add_u32_e32 v0, s2, v0
	s_cbranch_scc1 .LBB0_6
; %bb.1:
	s_load_dword s2, s[0:1], 0x10
	s_mov_b32 s3, 0
	s_waitcnt lgkmcnt(0)
	s_cmp_lt_u32 s2, s8
	s_cselect_b32 s0, s2, 0
	v_cmp_eq_u32_e32 vcc, s0, v0
	s_and_saveexec_b64 s[0:1], vcc
	s_cbranch_execz .LBB0_5
; %bb.2:
	s_add_i32 s2, s2, 64
	s_lshl_b64 s[2:3], s[2:3], 3
	s_add_u32 s2, s4, s2
	s_addc_u32 s3, s5, s3
	v_mov_b32_e32 v4, 0
	global_load_dwordx2 v[2:3], v4, s[2:3] sc1
	s_waitcnt vmcnt(0)
	v_and_b32_e32 v5, 0xff, v3
	v_cmp_ne_u64_e32 vcc, 0, v[4:5]
	s_cbranch_vccnz .LBB0_4
.LBB0_3:                                ; =>This Inner Loop Header: Depth=1
	global_load_dwordx2 v[2:3], v4, s[2:3] sc1
	s_waitcnt vmcnt(0)
	v_and_b32_e32 v5, 0xff, v3
	v_cmp_eq_u64_e32 vcc, 0, v[4:5]
	s_cbranch_vccnz .LBB0_3
.LBB0_4:
	v_mov_b32_e32 v1, 0
	global_store_dword v1, v2, s[6:7]
.LBB0_5:
	s_or_b64 exec, exec, s[0:1]
.LBB0_6:
	v_cmp_gt_u32_e32 vcc, s8, v0
	s_and_saveexec_b64 s[0:1], vcc
	s_cbranch_execnz .LBB0_9
; %bb.7:
	s_or_b64 exec, exec, s[0:1]
	v_cmp_gt_u32_e32 vcc, 64, v0
	s_and_saveexec_b64 s[0:1], vcc
	s_cbranch_execnz .LBB0_10
.LBB0_8:
	s_endpgm
.LBB0_9:
	v_add_u32_e32 v2, 64, v0
	v_mov_b32_e32 v3, 0
	v_lshl_add_u64 v[4:5], v[2:3], 3, s[4:5]
	v_mov_b32_e32 v2, v3
	global_store_dwordx2 v[4:5], v[2:3], off
	s_or_b64 exec, exec, s[0:1]
	v_cmp_gt_u32_e32 vcc, 64, v0
	s_and_saveexec_b64 s[0:1], vcc
	s_cbranch_execz .LBB0_8
.LBB0_10:
	v_mov_b32_e32 v1, 0
	v_lshl_add_u64 v[2:3], v[0:1], 3, s[4:5]
	v_mov_b32_e32 v5, 0xff
	v_mov_b32_e32 v4, v1
	global_store_dwordx2 v[2:3], v[4:5], off
	s_endpgm
	.section	.rodata,"a",@progbits
	.p2align	6, 0x0
	.amdhsa_kernel _ZN7rocprim17ROCPRIM_400000_NS6detail31init_lookback_scan_state_kernelINS1_19lookback_scan_stateIjLb0ELb1EEENS1_16block_id_wrapperIjLb0EEEEEvT_jT0_jPNS7_10value_typeE
		.amdhsa_group_segment_fixed_size 0
		.amdhsa_private_segment_fixed_size 0
		.amdhsa_kernarg_size 288
		.amdhsa_user_sgpr_count 2
		.amdhsa_user_sgpr_dispatch_ptr 0
		.amdhsa_user_sgpr_queue_ptr 0
		.amdhsa_user_sgpr_kernarg_segment_ptr 1
		.amdhsa_user_sgpr_dispatch_id 0
		.amdhsa_user_sgpr_kernarg_preload_length 0
		.amdhsa_user_sgpr_kernarg_preload_offset 0
		.amdhsa_user_sgpr_private_segment_size 0
		.amdhsa_uses_dynamic_stack 0
		.amdhsa_enable_private_segment 0
		.amdhsa_system_sgpr_workgroup_id_x 1
		.amdhsa_system_sgpr_workgroup_id_y 0
		.amdhsa_system_sgpr_workgroup_id_z 0
		.amdhsa_system_sgpr_workgroup_info 0
		.amdhsa_system_vgpr_workitem_id 0
		.amdhsa_next_free_vgpr 6
		.amdhsa_next_free_sgpr 9
		.amdhsa_accum_offset 8
		.amdhsa_reserve_vcc 1
		.amdhsa_float_round_mode_32 0
		.amdhsa_float_round_mode_16_64 0
		.amdhsa_float_denorm_mode_32 3
		.amdhsa_float_denorm_mode_16_64 3
		.amdhsa_dx10_clamp 1
		.amdhsa_ieee_mode 1
		.amdhsa_fp16_overflow 0
		.amdhsa_tg_split 0
		.amdhsa_exception_fp_ieee_invalid_op 0
		.amdhsa_exception_fp_denorm_src 0
		.amdhsa_exception_fp_ieee_div_zero 0
		.amdhsa_exception_fp_ieee_overflow 0
		.amdhsa_exception_fp_ieee_underflow 0
		.amdhsa_exception_fp_ieee_inexact 0
		.amdhsa_exception_int_div_zero 0
	.end_amdhsa_kernel
	.section	.text._ZN7rocprim17ROCPRIM_400000_NS6detail31init_lookback_scan_state_kernelINS1_19lookback_scan_stateIjLb0ELb1EEENS1_16block_id_wrapperIjLb0EEEEEvT_jT0_jPNS7_10value_typeE,"axG",@progbits,_ZN7rocprim17ROCPRIM_400000_NS6detail31init_lookback_scan_state_kernelINS1_19lookback_scan_stateIjLb0ELb1EEENS1_16block_id_wrapperIjLb0EEEEEvT_jT0_jPNS7_10value_typeE,comdat
.Lfunc_end0:
	.size	_ZN7rocprim17ROCPRIM_400000_NS6detail31init_lookback_scan_state_kernelINS1_19lookback_scan_stateIjLb0ELb1EEENS1_16block_id_wrapperIjLb0EEEEEvT_jT0_jPNS7_10value_typeE, .Lfunc_end0-_ZN7rocprim17ROCPRIM_400000_NS6detail31init_lookback_scan_state_kernelINS1_19lookback_scan_stateIjLb0ELb1EEENS1_16block_id_wrapperIjLb0EEEEEvT_jT0_jPNS7_10value_typeE
                                        ; -- End function
	.section	.AMDGPU.csdata,"",@progbits
; Kernel info:
; codeLenInByte = 300
; NumSgprs: 15
; NumVgprs: 6
; NumAgprs: 0
; TotalNumVgprs: 6
; ScratchSize: 0
; MemoryBound: 0
; FloatMode: 240
; IeeeMode: 1
; LDSByteSize: 0 bytes/workgroup (compile time only)
; SGPRBlocks: 1
; VGPRBlocks: 0
; NumSGPRsForWavesPerEU: 15
; NumVGPRsForWavesPerEU: 6
; AccumOffset: 8
; Occupancy: 8
; WaveLimiterHint : 0
; COMPUTE_PGM_RSRC2:SCRATCH_EN: 0
; COMPUTE_PGM_RSRC2:USER_SGPR: 2
; COMPUTE_PGM_RSRC2:TRAP_HANDLER: 0
; COMPUTE_PGM_RSRC2:TGID_X_EN: 1
; COMPUTE_PGM_RSRC2:TGID_Y_EN: 0
; COMPUTE_PGM_RSRC2:TGID_Z_EN: 0
; COMPUTE_PGM_RSRC2:TIDIG_COMP_CNT: 0
; COMPUTE_PGM_RSRC3_GFX90A:ACCUM_OFFSET: 1
; COMPUTE_PGM_RSRC3_GFX90A:TG_SPLIT: 0
	.section	.text._ZN7rocprim17ROCPRIM_400000_NS6detail17trampoline_kernelINS0_14default_configENS1_25partition_config_selectorILNS1_17partition_subalgoE9EiibEEZZNS1_14partition_implILS5_9ELb0ES3_jPKiN6thrust23THRUST_200600_302600_NS17counting_iteratorIiNSB_11use_defaultESD_SD_EEPNS0_10empty_typeENS0_5tupleIJPiSF_EEENSH_IJSI_SG_EEENS0_18inequality_wrapperIN6hipcub16HIPCUB_304000_NS8EqualityEEEPlJSF_EEE10hipError_tPvRmT3_T4_T5_T6_T7_T9_mT8_P12ihipStream_tbDpT10_ENKUlT_T0_E_clISt17integral_constantIbLb0EES1A_EEDaS15_S16_EUlS15_E_NS1_11comp_targetILNS1_3genE0ELNS1_11target_archE4294967295ELNS1_3gpuE0ELNS1_3repE0EEENS1_30default_config_static_selectorELNS0_4arch9wavefront6targetE1EEEvT1_,"axG",@progbits,_ZN7rocprim17ROCPRIM_400000_NS6detail17trampoline_kernelINS0_14default_configENS1_25partition_config_selectorILNS1_17partition_subalgoE9EiibEEZZNS1_14partition_implILS5_9ELb0ES3_jPKiN6thrust23THRUST_200600_302600_NS17counting_iteratorIiNSB_11use_defaultESD_SD_EEPNS0_10empty_typeENS0_5tupleIJPiSF_EEENSH_IJSI_SG_EEENS0_18inequality_wrapperIN6hipcub16HIPCUB_304000_NS8EqualityEEEPlJSF_EEE10hipError_tPvRmT3_T4_T5_T6_T7_T9_mT8_P12ihipStream_tbDpT10_ENKUlT_T0_E_clISt17integral_constantIbLb0EES1A_EEDaS15_S16_EUlS15_E_NS1_11comp_targetILNS1_3genE0ELNS1_11target_archE4294967295ELNS1_3gpuE0ELNS1_3repE0EEENS1_30default_config_static_selectorELNS0_4arch9wavefront6targetE1EEEvT1_,comdat
	.protected	_ZN7rocprim17ROCPRIM_400000_NS6detail17trampoline_kernelINS0_14default_configENS1_25partition_config_selectorILNS1_17partition_subalgoE9EiibEEZZNS1_14partition_implILS5_9ELb0ES3_jPKiN6thrust23THRUST_200600_302600_NS17counting_iteratorIiNSB_11use_defaultESD_SD_EEPNS0_10empty_typeENS0_5tupleIJPiSF_EEENSH_IJSI_SG_EEENS0_18inequality_wrapperIN6hipcub16HIPCUB_304000_NS8EqualityEEEPlJSF_EEE10hipError_tPvRmT3_T4_T5_T6_T7_T9_mT8_P12ihipStream_tbDpT10_ENKUlT_T0_E_clISt17integral_constantIbLb0EES1A_EEDaS15_S16_EUlS15_E_NS1_11comp_targetILNS1_3genE0ELNS1_11target_archE4294967295ELNS1_3gpuE0ELNS1_3repE0EEENS1_30default_config_static_selectorELNS0_4arch9wavefront6targetE1EEEvT1_ ; -- Begin function _ZN7rocprim17ROCPRIM_400000_NS6detail17trampoline_kernelINS0_14default_configENS1_25partition_config_selectorILNS1_17partition_subalgoE9EiibEEZZNS1_14partition_implILS5_9ELb0ES3_jPKiN6thrust23THRUST_200600_302600_NS17counting_iteratorIiNSB_11use_defaultESD_SD_EEPNS0_10empty_typeENS0_5tupleIJPiSF_EEENSH_IJSI_SG_EEENS0_18inequality_wrapperIN6hipcub16HIPCUB_304000_NS8EqualityEEEPlJSF_EEE10hipError_tPvRmT3_T4_T5_T6_T7_T9_mT8_P12ihipStream_tbDpT10_ENKUlT_T0_E_clISt17integral_constantIbLb0EES1A_EEDaS15_S16_EUlS15_E_NS1_11comp_targetILNS1_3genE0ELNS1_11target_archE4294967295ELNS1_3gpuE0ELNS1_3repE0EEENS1_30default_config_static_selectorELNS0_4arch9wavefront6targetE1EEEvT1_
	.globl	_ZN7rocprim17ROCPRIM_400000_NS6detail17trampoline_kernelINS0_14default_configENS1_25partition_config_selectorILNS1_17partition_subalgoE9EiibEEZZNS1_14partition_implILS5_9ELb0ES3_jPKiN6thrust23THRUST_200600_302600_NS17counting_iteratorIiNSB_11use_defaultESD_SD_EEPNS0_10empty_typeENS0_5tupleIJPiSF_EEENSH_IJSI_SG_EEENS0_18inequality_wrapperIN6hipcub16HIPCUB_304000_NS8EqualityEEEPlJSF_EEE10hipError_tPvRmT3_T4_T5_T6_T7_T9_mT8_P12ihipStream_tbDpT10_ENKUlT_T0_E_clISt17integral_constantIbLb0EES1A_EEDaS15_S16_EUlS15_E_NS1_11comp_targetILNS1_3genE0ELNS1_11target_archE4294967295ELNS1_3gpuE0ELNS1_3repE0EEENS1_30default_config_static_selectorELNS0_4arch9wavefront6targetE1EEEvT1_
	.p2align	8
	.type	_ZN7rocprim17ROCPRIM_400000_NS6detail17trampoline_kernelINS0_14default_configENS1_25partition_config_selectorILNS1_17partition_subalgoE9EiibEEZZNS1_14partition_implILS5_9ELb0ES3_jPKiN6thrust23THRUST_200600_302600_NS17counting_iteratorIiNSB_11use_defaultESD_SD_EEPNS0_10empty_typeENS0_5tupleIJPiSF_EEENSH_IJSI_SG_EEENS0_18inequality_wrapperIN6hipcub16HIPCUB_304000_NS8EqualityEEEPlJSF_EEE10hipError_tPvRmT3_T4_T5_T6_T7_T9_mT8_P12ihipStream_tbDpT10_ENKUlT_T0_E_clISt17integral_constantIbLb0EES1A_EEDaS15_S16_EUlS15_E_NS1_11comp_targetILNS1_3genE0ELNS1_11target_archE4294967295ELNS1_3gpuE0ELNS1_3repE0EEENS1_30default_config_static_selectorELNS0_4arch9wavefront6targetE1EEEvT1_,@function
_ZN7rocprim17ROCPRIM_400000_NS6detail17trampoline_kernelINS0_14default_configENS1_25partition_config_selectorILNS1_17partition_subalgoE9EiibEEZZNS1_14partition_implILS5_9ELb0ES3_jPKiN6thrust23THRUST_200600_302600_NS17counting_iteratorIiNSB_11use_defaultESD_SD_EEPNS0_10empty_typeENS0_5tupleIJPiSF_EEENSH_IJSI_SG_EEENS0_18inequality_wrapperIN6hipcub16HIPCUB_304000_NS8EqualityEEEPlJSF_EEE10hipError_tPvRmT3_T4_T5_T6_T7_T9_mT8_P12ihipStream_tbDpT10_ENKUlT_T0_E_clISt17integral_constantIbLb0EES1A_EEDaS15_S16_EUlS15_E_NS1_11comp_targetILNS1_3genE0ELNS1_11target_archE4294967295ELNS1_3gpuE0ELNS1_3repE0EEENS1_30default_config_static_selectorELNS0_4arch9wavefront6targetE1EEEvT1_: ; @_ZN7rocprim17ROCPRIM_400000_NS6detail17trampoline_kernelINS0_14default_configENS1_25partition_config_selectorILNS1_17partition_subalgoE9EiibEEZZNS1_14partition_implILS5_9ELb0ES3_jPKiN6thrust23THRUST_200600_302600_NS17counting_iteratorIiNSB_11use_defaultESD_SD_EEPNS0_10empty_typeENS0_5tupleIJPiSF_EEENSH_IJSI_SG_EEENS0_18inequality_wrapperIN6hipcub16HIPCUB_304000_NS8EqualityEEEPlJSF_EEE10hipError_tPvRmT3_T4_T5_T6_T7_T9_mT8_P12ihipStream_tbDpT10_ENKUlT_T0_E_clISt17integral_constantIbLb0EES1A_EEDaS15_S16_EUlS15_E_NS1_11comp_targetILNS1_3genE0ELNS1_11target_archE4294967295ELNS1_3gpuE0ELNS1_3repE0EEENS1_30default_config_static_selectorELNS0_4arch9wavefront6targetE1EEEvT1_
; %bb.0:
	.section	.rodata,"a",@progbits
	.p2align	6, 0x0
	.amdhsa_kernel _ZN7rocprim17ROCPRIM_400000_NS6detail17trampoline_kernelINS0_14default_configENS1_25partition_config_selectorILNS1_17partition_subalgoE9EiibEEZZNS1_14partition_implILS5_9ELb0ES3_jPKiN6thrust23THRUST_200600_302600_NS17counting_iteratorIiNSB_11use_defaultESD_SD_EEPNS0_10empty_typeENS0_5tupleIJPiSF_EEENSH_IJSI_SG_EEENS0_18inequality_wrapperIN6hipcub16HIPCUB_304000_NS8EqualityEEEPlJSF_EEE10hipError_tPvRmT3_T4_T5_T6_T7_T9_mT8_P12ihipStream_tbDpT10_ENKUlT_T0_E_clISt17integral_constantIbLb0EES1A_EEDaS15_S16_EUlS15_E_NS1_11comp_targetILNS1_3genE0ELNS1_11target_archE4294967295ELNS1_3gpuE0ELNS1_3repE0EEENS1_30default_config_static_selectorELNS0_4arch9wavefront6targetE1EEEvT1_
		.amdhsa_group_segment_fixed_size 0
		.amdhsa_private_segment_fixed_size 0
		.amdhsa_kernarg_size 112
		.amdhsa_user_sgpr_count 2
		.amdhsa_user_sgpr_dispatch_ptr 0
		.amdhsa_user_sgpr_queue_ptr 0
		.amdhsa_user_sgpr_kernarg_segment_ptr 1
		.amdhsa_user_sgpr_dispatch_id 0
		.amdhsa_user_sgpr_kernarg_preload_length 0
		.amdhsa_user_sgpr_kernarg_preload_offset 0
		.amdhsa_user_sgpr_private_segment_size 0
		.amdhsa_uses_dynamic_stack 0
		.amdhsa_enable_private_segment 0
		.amdhsa_system_sgpr_workgroup_id_x 1
		.amdhsa_system_sgpr_workgroup_id_y 0
		.amdhsa_system_sgpr_workgroup_id_z 0
		.amdhsa_system_sgpr_workgroup_info 0
		.amdhsa_system_vgpr_workitem_id 0
		.amdhsa_next_free_vgpr 1
		.amdhsa_next_free_sgpr 0
		.amdhsa_accum_offset 4
		.amdhsa_reserve_vcc 0
		.amdhsa_float_round_mode_32 0
		.amdhsa_float_round_mode_16_64 0
		.amdhsa_float_denorm_mode_32 3
		.amdhsa_float_denorm_mode_16_64 3
		.amdhsa_dx10_clamp 1
		.amdhsa_ieee_mode 1
		.amdhsa_fp16_overflow 0
		.amdhsa_tg_split 0
		.amdhsa_exception_fp_ieee_invalid_op 0
		.amdhsa_exception_fp_denorm_src 0
		.amdhsa_exception_fp_ieee_div_zero 0
		.amdhsa_exception_fp_ieee_overflow 0
		.amdhsa_exception_fp_ieee_underflow 0
		.amdhsa_exception_fp_ieee_inexact 0
		.amdhsa_exception_int_div_zero 0
	.end_amdhsa_kernel
	.section	.text._ZN7rocprim17ROCPRIM_400000_NS6detail17trampoline_kernelINS0_14default_configENS1_25partition_config_selectorILNS1_17partition_subalgoE9EiibEEZZNS1_14partition_implILS5_9ELb0ES3_jPKiN6thrust23THRUST_200600_302600_NS17counting_iteratorIiNSB_11use_defaultESD_SD_EEPNS0_10empty_typeENS0_5tupleIJPiSF_EEENSH_IJSI_SG_EEENS0_18inequality_wrapperIN6hipcub16HIPCUB_304000_NS8EqualityEEEPlJSF_EEE10hipError_tPvRmT3_T4_T5_T6_T7_T9_mT8_P12ihipStream_tbDpT10_ENKUlT_T0_E_clISt17integral_constantIbLb0EES1A_EEDaS15_S16_EUlS15_E_NS1_11comp_targetILNS1_3genE0ELNS1_11target_archE4294967295ELNS1_3gpuE0ELNS1_3repE0EEENS1_30default_config_static_selectorELNS0_4arch9wavefront6targetE1EEEvT1_,"axG",@progbits,_ZN7rocprim17ROCPRIM_400000_NS6detail17trampoline_kernelINS0_14default_configENS1_25partition_config_selectorILNS1_17partition_subalgoE9EiibEEZZNS1_14partition_implILS5_9ELb0ES3_jPKiN6thrust23THRUST_200600_302600_NS17counting_iteratorIiNSB_11use_defaultESD_SD_EEPNS0_10empty_typeENS0_5tupleIJPiSF_EEENSH_IJSI_SG_EEENS0_18inequality_wrapperIN6hipcub16HIPCUB_304000_NS8EqualityEEEPlJSF_EEE10hipError_tPvRmT3_T4_T5_T6_T7_T9_mT8_P12ihipStream_tbDpT10_ENKUlT_T0_E_clISt17integral_constantIbLb0EES1A_EEDaS15_S16_EUlS15_E_NS1_11comp_targetILNS1_3genE0ELNS1_11target_archE4294967295ELNS1_3gpuE0ELNS1_3repE0EEENS1_30default_config_static_selectorELNS0_4arch9wavefront6targetE1EEEvT1_,comdat
.Lfunc_end1:
	.size	_ZN7rocprim17ROCPRIM_400000_NS6detail17trampoline_kernelINS0_14default_configENS1_25partition_config_selectorILNS1_17partition_subalgoE9EiibEEZZNS1_14partition_implILS5_9ELb0ES3_jPKiN6thrust23THRUST_200600_302600_NS17counting_iteratorIiNSB_11use_defaultESD_SD_EEPNS0_10empty_typeENS0_5tupleIJPiSF_EEENSH_IJSI_SG_EEENS0_18inequality_wrapperIN6hipcub16HIPCUB_304000_NS8EqualityEEEPlJSF_EEE10hipError_tPvRmT3_T4_T5_T6_T7_T9_mT8_P12ihipStream_tbDpT10_ENKUlT_T0_E_clISt17integral_constantIbLb0EES1A_EEDaS15_S16_EUlS15_E_NS1_11comp_targetILNS1_3genE0ELNS1_11target_archE4294967295ELNS1_3gpuE0ELNS1_3repE0EEENS1_30default_config_static_selectorELNS0_4arch9wavefront6targetE1EEEvT1_, .Lfunc_end1-_ZN7rocprim17ROCPRIM_400000_NS6detail17trampoline_kernelINS0_14default_configENS1_25partition_config_selectorILNS1_17partition_subalgoE9EiibEEZZNS1_14partition_implILS5_9ELb0ES3_jPKiN6thrust23THRUST_200600_302600_NS17counting_iteratorIiNSB_11use_defaultESD_SD_EEPNS0_10empty_typeENS0_5tupleIJPiSF_EEENSH_IJSI_SG_EEENS0_18inequality_wrapperIN6hipcub16HIPCUB_304000_NS8EqualityEEEPlJSF_EEE10hipError_tPvRmT3_T4_T5_T6_T7_T9_mT8_P12ihipStream_tbDpT10_ENKUlT_T0_E_clISt17integral_constantIbLb0EES1A_EEDaS15_S16_EUlS15_E_NS1_11comp_targetILNS1_3genE0ELNS1_11target_archE4294967295ELNS1_3gpuE0ELNS1_3repE0EEENS1_30default_config_static_selectorELNS0_4arch9wavefront6targetE1EEEvT1_
                                        ; -- End function
	.section	.AMDGPU.csdata,"",@progbits
; Kernel info:
; codeLenInByte = 0
; NumSgprs: 6
; NumVgprs: 0
; NumAgprs: 0
; TotalNumVgprs: 0
; ScratchSize: 0
; MemoryBound: 0
; FloatMode: 240
; IeeeMode: 1
; LDSByteSize: 0 bytes/workgroup (compile time only)
; SGPRBlocks: 0
; VGPRBlocks: 0
; NumSGPRsForWavesPerEU: 6
; NumVGPRsForWavesPerEU: 1
; AccumOffset: 4
; Occupancy: 8
; WaveLimiterHint : 0
; COMPUTE_PGM_RSRC2:SCRATCH_EN: 0
; COMPUTE_PGM_RSRC2:USER_SGPR: 2
; COMPUTE_PGM_RSRC2:TRAP_HANDLER: 0
; COMPUTE_PGM_RSRC2:TGID_X_EN: 1
; COMPUTE_PGM_RSRC2:TGID_Y_EN: 0
; COMPUTE_PGM_RSRC2:TGID_Z_EN: 0
; COMPUTE_PGM_RSRC2:TIDIG_COMP_CNT: 0
; COMPUTE_PGM_RSRC3_GFX90A:ACCUM_OFFSET: 0
; COMPUTE_PGM_RSRC3_GFX90A:TG_SPLIT: 0
	.section	.text._ZN7rocprim17ROCPRIM_400000_NS6detail17trampoline_kernelINS0_14default_configENS1_25partition_config_selectorILNS1_17partition_subalgoE9EiibEEZZNS1_14partition_implILS5_9ELb0ES3_jPKiN6thrust23THRUST_200600_302600_NS17counting_iteratorIiNSB_11use_defaultESD_SD_EEPNS0_10empty_typeENS0_5tupleIJPiSF_EEENSH_IJSI_SG_EEENS0_18inequality_wrapperIN6hipcub16HIPCUB_304000_NS8EqualityEEEPlJSF_EEE10hipError_tPvRmT3_T4_T5_T6_T7_T9_mT8_P12ihipStream_tbDpT10_ENKUlT_T0_E_clISt17integral_constantIbLb0EES1A_EEDaS15_S16_EUlS15_E_NS1_11comp_targetILNS1_3genE5ELNS1_11target_archE942ELNS1_3gpuE9ELNS1_3repE0EEENS1_30default_config_static_selectorELNS0_4arch9wavefront6targetE1EEEvT1_,"axG",@progbits,_ZN7rocprim17ROCPRIM_400000_NS6detail17trampoline_kernelINS0_14default_configENS1_25partition_config_selectorILNS1_17partition_subalgoE9EiibEEZZNS1_14partition_implILS5_9ELb0ES3_jPKiN6thrust23THRUST_200600_302600_NS17counting_iteratorIiNSB_11use_defaultESD_SD_EEPNS0_10empty_typeENS0_5tupleIJPiSF_EEENSH_IJSI_SG_EEENS0_18inequality_wrapperIN6hipcub16HIPCUB_304000_NS8EqualityEEEPlJSF_EEE10hipError_tPvRmT3_T4_T5_T6_T7_T9_mT8_P12ihipStream_tbDpT10_ENKUlT_T0_E_clISt17integral_constantIbLb0EES1A_EEDaS15_S16_EUlS15_E_NS1_11comp_targetILNS1_3genE5ELNS1_11target_archE942ELNS1_3gpuE9ELNS1_3repE0EEENS1_30default_config_static_selectorELNS0_4arch9wavefront6targetE1EEEvT1_,comdat
	.protected	_ZN7rocprim17ROCPRIM_400000_NS6detail17trampoline_kernelINS0_14default_configENS1_25partition_config_selectorILNS1_17partition_subalgoE9EiibEEZZNS1_14partition_implILS5_9ELb0ES3_jPKiN6thrust23THRUST_200600_302600_NS17counting_iteratorIiNSB_11use_defaultESD_SD_EEPNS0_10empty_typeENS0_5tupleIJPiSF_EEENSH_IJSI_SG_EEENS0_18inequality_wrapperIN6hipcub16HIPCUB_304000_NS8EqualityEEEPlJSF_EEE10hipError_tPvRmT3_T4_T5_T6_T7_T9_mT8_P12ihipStream_tbDpT10_ENKUlT_T0_E_clISt17integral_constantIbLb0EES1A_EEDaS15_S16_EUlS15_E_NS1_11comp_targetILNS1_3genE5ELNS1_11target_archE942ELNS1_3gpuE9ELNS1_3repE0EEENS1_30default_config_static_selectorELNS0_4arch9wavefront6targetE1EEEvT1_ ; -- Begin function _ZN7rocprim17ROCPRIM_400000_NS6detail17trampoline_kernelINS0_14default_configENS1_25partition_config_selectorILNS1_17partition_subalgoE9EiibEEZZNS1_14partition_implILS5_9ELb0ES3_jPKiN6thrust23THRUST_200600_302600_NS17counting_iteratorIiNSB_11use_defaultESD_SD_EEPNS0_10empty_typeENS0_5tupleIJPiSF_EEENSH_IJSI_SG_EEENS0_18inequality_wrapperIN6hipcub16HIPCUB_304000_NS8EqualityEEEPlJSF_EEE10hipError_tPvRmT3_T4_T5_T6_T7_T9_mT8_P12ihipStream_tbDpT10_ENKUlT_T0_E_clISt17integral_constantIbLb0EES1A_EEDaS15_S16_EUlS15_E_NS1_11comp_targetILNS1_3genE5ELNS1_11target_archE942ELNS1_3gpuE9ELNS1_3repE0EEENS1_30default_config_static_selectorELNS0_4arch9wavefront6targetE1EEEvT1_
	.globl	_ZN7rocprim17ROCPRIM_400000_NS6detail17trampoline_kernelINS0_14default_configENS1_25partition_config_selectorILNS1_17partition_subalgoE9EiibEEZZNS1_14partition_implILS5_9ELb0ES3_jPKiN6thrust23THRUST_200600_302600_NS17counting_iteratorIiNSB_11use_defaultESD_SD_EEPNS0_10empty_typeENS0_5tupleIJPiSF_EEENSH_IJSI_SG_EEENS0_18inequality_wrapperIN6hipcub16HIPCUB_304000_NS8EqualityEEEPlJSF_EEE10hipError_tPvRmT3_T4_T5_T6_T7_T9_mT8_P12ihipStream_tbDpT10_ENKUlT_T0_E_clISt17integral_constantIbLb0EES1A_EEDaS15_S16_EUlS15_E_NS1_11comp_targetILNS1_3genE5ELNS1_11target_archE942ELNS1_3gpuE9ELNS1_3repE0EEENS1_30default_config_static_selectorELNS0_4arch9wavefront6targetE1EEEvT1_
	.p2align	8
	.type	_ZN7rocprim17ROCPRIM_400000_NS6detail17trampoline_kernelINS0_14default_configENS1_25partition_config_selectorILNS1_17partition_subalgoE9EiibEEZZNS1_14partition_implILS5_9ELb0ES3_jPKiN6thrust23THRUST_200600_302600_NS17counting_iteratorIiNSB_11use_defaultESD_SD_EEPNS0_10empty_typeENS0_5tupleIJPiSF_EEENSH_IJSI_SG_EEENS0_18inequality_wrapperIN6hipcub16HIPCUB_304000_NS8EqualityEEEPlJSF_EEE10hipError_tPvRmT3_T4_T5_T6_T7_T9_mT8_P12ihipStream_tbDpT10_ENKUlT_T0_E_clISt17integral_constantIbLb0EES1A_EEDaS15_S16_EUlS15_E_NS1_11comp_targetILNS1_3genE5ELNS1_11target_archE942ELNS1_3gpuE9ELNS1_3repE0EEENS1_30default_config_static_selectorELNS0_4arch9wavefront6targetE1EEEvT1_,@function
_ZN7rocprim17ROCPRIM_400000_NS6detail17trampoline_kernelINS0_14default_configENS1_25partition_config_selectorILNS1_17partition_subalgoE9EiibEEZZNS1_14partition_implILS5_9ELb0ES3_jPKiN6thrust23THRUST_200600_302600_NS17counting_iteratorIiNSB_11use_defaultESD_SD_EEPNS0_10empty_typeENS0_5tupleIJPiSF_EEENSH_IJSI_SG_EEENS0_18inequality_wrapperIN6hipcub16HIPCUB_304000_NS8EqualityEEEPlJSF_EEE10hipError_tPvRmT3_T4_T5_T6_T7_T9_mT8_P12ihipStream_tbDpT10_ENKUlT_T0_E_clISt17integral_constantIbLb0EES1A_EEDaS15_S16_EUlS15_E_NS1_11comp_targetILNS1_3genE5ELNS1_11target_archE942ELNS1_3gpuE9ELNS1_3repE0EEENS1_30default_config_static_selectorELNS0_4arch9wavefront6targetE1EEEvT1_: ; @_ZN7rocprim17ROCPRIM_400000_NS6detail17trampoline_kernelINS0_14default_configENS1_25partition_config_selectorILNS1_17partition_subalgoE9EiibEEZZNS1_14partition_implILS5_9ELb0ES3_jPKiN6thrust23THRUST_200600_302600_NS17counting_iteratorIiNSB_11use_defaultESD_SD_EEPNS0_10empty_typeENS0_5tupleIJPiSF_EEENSH_IJSI_SG_EEENS0_18inequality_wrapperIN6hipcub16HIPCUB_304000_NS8EqualityEEEPlJSF_EEE10hipError_tPvRmT3_T4_T5_T6_T7_T9_mT8_P12ihipStream_tbDpT10_ENKUlT_T0_E_clISt17integral_constantIbLb0EES1A_EEDaS15_S16_EUlS15_E_NS1_11comp_targetILNS1_3genE5ELNS1_11target_archE942ELNS1_3gpuE9ELNS1_3repE0EEENS1_30default_config_static_selectorELNS0_4arch9wavefront6targetE1EEEvT1_
; %bb.0:
	s_load_dwordx2 s[10:11], s[0:1], 0x50
	s_load_dwordx4 s[4:7], s[0:1], 0x8
	s_load_dwordx4 s[36:39], s[0:1], 0x40
	s_load_dword s3, s[0:1], 0x68
	s_waitcnt lgkmcnt(0)
	v_mov_b32_e32 v3, s11
	s_lshl_b64 s[8:9], s[6:7], 2
	s_add_u32 s12, s4, s8
	s_mul_i32 s4, s3, 0x1e00
	s_addc_u32 s13, s5, s9
	s_add_i32 s11, s3, -1
	s_add_i32 s3, s4, s6
	s_sub_i32 s3, s10, s3
	s_add_u32 s4, s6, s4
	s_addc_u32 s5, s7, 0
	v_mov_b32_e32 v2, s10
	s_cmp_eq_u32 s2, s11
	s_load_dwordx2 s[34:35], s[38:39], 0x0
	v_cmp_ge_u64_e32 vcc, s[4:5], v[2:3]
	s_cselect_b64 s[38:39], -1, 0
	s_mul_i32 s8, s2, 0x1e00
	s_mov_b32 s9, 0
	s_and_b64 s[42:43], s[38:39], vcc
	s_xor_b64 s[40:41], s[42:43], -1
	s_lshl_b64 s[4:5], s[8:9], 2
	s_add_u32 s4, s12, s4
	s_mov_b64 s[10:11], -1
	s_addc_u32 s5, s13, s5
	s_and_b64 vcc, exec, s[40:41]
	s_cbranch_vccz .LBB2_2
; %bb.1:
	v_lshlrev_b32_e32 v2, 2, v0
	v_mov_b32_e32 v3, 0
	v_lshl_add_u64 v[4:5], s[4:5], 0, v[2:3]
	v_add_co_u32_e32 v6, vcc, 0x1000, v4
	global_load_dword v1, v2, s[4:5]
	global_load_dword v3, v2, s[4:5] offset:2048
	v_addc_co_u32_e32 v7, vcc, 0, v5, vcc
	v_add_co_u32_e32 v8, vcc, 0x2000, v4
	s_mov_b64 s[10:11], 0
	s_nop 0
	v_addc_co_u32_e32 v9, vcc, 0, v5, vcc
	v_add_co_u32_e32 v10, vcc, 0x3000, v4
	s_nop 1
	v_addc_co_u32_e32 v11, vcc, 0, v5, vcc
	v_add_co_u32_e32 v12, vcc, 0x4000, v4
	s_nop 1
	v_addc_co_u32_e32 v13, vcc, 0, v5, vcc
	global_load_dword v14, v[6:7], off
	global_load_dword v15, v[6:7], off offset:2048
	global_load_dword v16, v[8:9], off
	global_load_dword v17, v[8:9], off offset:2048
	;; [unrolled: 2-line block ×4, first 2 shown]
	v_add_co_u32_e32 v6, vcc, 0x5000, v4
	s_nop 1
	v_addc_co_u32_e32 v7, vcc, 0, v5, vcc
	v_add_co_u32_e32 v8, vcc, 0x6000, v4
	s_nop 1
	v_addc_co_u32_e32 v9, vcc, 0, v5, vcc
	global_load_dword v10, v[6:7], off
	global_load_dword v11, v[6:7], off offset:2048
	global_load_dword v12, v[8:9], off
	global_load_dword v13, v[8:9], off offset:2048
	v_add_co_u32_e32 v4, vcc, 0x7000, v4
	s_nop 1
	v_addc_co_u32_e32 v5, vcc, 0, v5, vcc
	global_load_dword v4, v[4:5], off
	s_waitcnt vmcnt(13)
	ds_write2st64_b32 v2, v1, v3 offset1:8
	s_waitcnt vmcnt(11)
	ds_write2st64_b32 v2, v14, v15 offset0:16 offset1:24
	s_waitcnt vmcnt(9)
	ds_write2st64_b32 v2, v16, v17 offset0:32 offset1:40
	;; [unrolled: 2-line block ×6, first 2 shown]
	s_waitcnt vmcnt(0)
	ds_write_b32 v2, v4 offset:28672
	s_waitcnt lgkmcnt(0)
	s_barrier
.LBB2_2:
	s_load_dword s9, s[0:1], 0x18
	s_andn2_b64 vcc, exec, s[10:11]
	s_addk_i32 s3, 0x1e00
	s_cbranch_vccnz .LBB2_34
; %bb.3:
	v_cmp_gt_u32_e32 vcc, s3, v0
                                        ; implicit-def: $vgpr2_vgpr3_vgpr4_vgpr5_vgpr6_vgpr7_vgpr8_vgpr9_vgpr10_vgpr11_vgpr12_vgpr13_vgpr14_vgpr15_vgpr16_vgpr17
	s_and_saveexec_b64 s[10:11], vcc
	s_cbranch_execz .LBB2_5
; %bb.4:
	v_lshlrev_b32_e32 v1, 2, v0
	global_load_dword v2, v1, s[4:5]
.LBB2_5:
	s_or_b64 exec, exec, s[10:11]
	v_or_b32_e32 v1, 0x200, v0
	v_cmp_gt_u32_e32 vcc, s3, v1
	s_and_saveexec_b64 s[10:11], vcc
	s_cbranch_execz .LBB2_7
; %bb.6:
	v_lshlrev_b32_e32 v1, 2, v0
	global_load_dword v3, v1, s[4:5] offset:2048
.LBB2_7:
	s_or_b64 exec, exec, s[10:11]
	v_or_b32_e32 v1, 0x400, v0
	v_cmp_gt_u32_e32 vcc, s3, v1
	s_and_saveexec_b64 s[10:11], vcc
	s_cbranch_execz .LBB2_9
; %bb.8:
	v_lshlrev_b32_e32 v1, 2, v1
	global_load_dword v4, v1, s[4:5]
.LBB2_9:
	s_or_b64 exec, exec, s[10:11]
	v_or_b32_e32 v1, 0x600, v0
	v_cmp_gt_u32_e32 vcc, s3, v1
	s_and_saveexec_b64 s[10:11], vcc
	s_cbranch_execz .LBB2_11
; %bb.10:
	v_lshlrev_b32_e32 v1, 2, v1
	global_load_dword v5, v1, s[4:5]
.LBB2_11:
	;; [unrolled: 9-line block ×13, first 2 shown]
	s_or_b64 exec, exec, s[10:11]
	v_lshlrev_b32_e32 v1, 2, v0
	s_waitcnt vmcnt(0)
	ds_write2st64_b32 v1, v2, v3 offset1:8
	ds_write2st64_b32 v1, v4, v5 offset0:16 offset1:24
	ds_write2st64_b32 v1, v6, v7 offset0:32 offset1:40
	;; [unrolled: 1-line block ×6, first 2 shown]
	ds_write_b32 v1, v16 offset:28672
	s_waitcnt lgkmcnt(0)
	s_barrier
.LBB2_34:
	v_mul_u32_u24_e32 v2, 15, v0
	v_lshlrev_b32_e32 v17, 2, v2
	s_waitcnt lgkmcnt(0)
	ds_read2_b32 v[44:45], v17 offset1:1
	ds_read2_b32 v[42:43], v17 offset0:2 offset1:3
	ds_read2_b32 v[40:41], v17 offset0:4 offset1:5
	;; [unrolled: 1-line block ×6, first 2 shown]
	ds_read_b32 v1, v17 offset:56
	s_add_i32 s8, s8, s6
	s_add_i32 s8, s8, s9
	v_add_u32_e32 v3, s8, v0
	s_mov_b64 s[8:9], -1
	s_and_b64 vcc, exec, s[40:41]
	s_waitcnt lgkmcnt(0)
	s_barrier
	s_cbranch_vccz .LBB2_36
; %bb.35:
	v_add_u32_e32 v4, 0x200, v3
	v_lshlrev_b32_e32 v19, 2, v0
	v_add_u32_e32 v5, 0x400, v3
	v_add_u32_e32 v6, 0x600, v3
	;; [unrolled: 1-line block ×13, first 2 shown]
	ds_write2st64_b32 v19, v3, v4 offset1:8
	ds_write2st64_b32 v19, v5, v6 offset0:16 offset1:24
	ds_write2st64_b32 v19, v7, v8 offset0:32 offset1:40
	;; [unrolled: 1-line block ×6, first 2 shown]
	ds_write_b32 v19, v18 offset:28672
	s_waitcnt lgkmcnt(0)
	s_barrier
	s_mov_b64 s[8:9], 0
.LBB2_36:
	s_andn2_b64 vcc, exec, s[8:9]
	s_cbranch_vccnz .LBB2_38
; %bb.37:
	s_movk_i32 s8, 0xffc8
	v_add_u32_e32 v4, 0x200, v3
	v_mad_i32_i24 v19, v0, s8, v17
	v_add_u32_e32 v5, 0x400, v3
	v_add_u32_e32 v6, 0x600, v3
	;; [unrolled: 1-line block ×13, first 2 shown]
	ds_write2st64_b32 v19, v3, v4 offset1:8
	ds_write2st64_b32 v19, v5, v6 offset0:16 offset1:24
	ds_write2st64_b32 v19, v7, v8 offset0:32 offset1:40
	;; [unrolled: 1-line block ×6, first 2 shown]
	ds_write_b32 v19, v18 offset:28672
	s_waitcnt lgkmcnt(0)
	s_barrier
.LBB2_38:
	ds_read2_b32 v[30:31], v17 offset1:1
	ds_read2_b32 v[28:29], v17 offset0:2 offset1:3
	ds_read2_b32 v[26:27], v17 offset0:4 offset1:5
	;; [unrolled: 1-line block ×6, first 2 shown]
	ds_read_b32 v48, v17 offset:56
	s_cmp_lg_u32 s2, 0
	s_cselect_b64 s[44:45], -1, 0
	s_cmp_lg_u64 s[6:7], 0
	s_cselect_b64 s[6:7], -1, 0
	s_or_b64 s[6:7], s[44:45], s[6:7]
	v_add_u32_e32 v16, 1, v2
	v_add_u32_e32 v15, 2, v2
	;; [unrolled: 1-line block ×14, first 2 shown]
	s_mov_b64 s[46:47], 0
	s_and_b64 vcc, exec, s[6:7]
	s_waitcnt lgkmcnt(0)
	s_barrier
	s_cbranch_vccz .LBB2_43
; %bb.39:
	s_add_u32 s4, s4, -4
	s_addc_u32 s5, s5, -1
	s_load_dword s8, s[4:5], 0x0
	v_lshlrev_b32_e32 v17, 2, v0
	s_and_b64 vcc, exec, s[40:41]
	ds_write_b32 v17, v1
	s_cbranch_vccz .LBB2_45
; %bb.40:
	v_cmp_ne_u32_e32 vcc, 0, v0
	s_waitcnt lgkmcnt(0)
	v_mov_b32_e32 v46, s8
	s_barrier
	s_and_saveexec_b64 s[4:5], vcc
	s_cbranch_execz .LBB2_42
; %bb.41:
	v_add_u32_e32 v46, -4, v17
	ds_read_b32 v46, v46
.LBB2_42:
	s_or_b64 exec, exec, s[4:5]
	v_cmp_ne_u32_e32 vcc, v33, v1
	s_waitcnt lgkmcnt(0)
	v_cmp_ne_u32_e64 s[4:5], v46, v44
	v_cndmask_b32_e64 v49, 0, 1, vcc
	v_cmp_ne_u32_e32 vcc, v32, v33
	s_nop 1
	v_cndmask_b32_e64 v50, 0, 1, vcc
	v_cmp_ne_u32_e32 vcc, v35, v32
	s_nop 1
	;; [unrolled: 3-line block ×13, first 2 shown]
	v_cndmask_b32_e64 v62, 0, 1, vcc
	s_branch .LBB2_49
.LBB2_43:
                                        ; implicit-def: $sgpr4_sgpr5
                                        ; implicit-def: $vgpr49
                                        ; implicit-def: $vgpr50
                                        ; implicit-def: $vgpr51
                                        ; implicit-def: $vgpr52
                                        ; implicit-def: $vgpr53
                                        ; implicit-def: $vgpr54
                                        ; implicit-def: $vgpr55
                                        ; implicit-def: $vgpr62
                                        ; implicit-def: $vgpr61
                                        ; implicit-def: $vgpr60
                                        ; implicit-def: $vgpr59
                                        ; implicit-def: $vgpr58
                                        ; implicit-def: $vgpr57
                                        ; implicit-def: $vgpr56
	s_branch .LBB2_50
.LBB2_44:
                                        ; implicit-def: $sgpr8
	s_branch .LBB2_58
.LBB2_45:
                                        ; implicit-def: $sgpr4_sgpr5
                                        ; implicit-def: $vgpr49
                                        ; implicit-def: $vgpr50
                                        ; implicit-def: $vgpr51
                                        ; implicit-def: $vgpr52
                                        ; implicit-def: $vgpr53
                                        ; implicit-def: $vgpr54
                                        ; implicit-def: $vgpr55
                                        ; implicit-def: $vgpr62
                                        ; implicit-def: $vgpr61
                                        ; implicit-def: $vgpr60
                                        ; implicit-def: $vgpr59
                                        ; implicit-def: $vgpr58
                                        ; implicit-def: $vgpr57
                                        ; implicit-def: $vgpr56
	s_cbranch_execz .LBB2_49
; %bb.46:
	v_cmp_ne_u32_e32 vcc, 0, v0
	s_waitcnt lgkmcnt(0)
	v_mov_b32_e32 v46, s8
	s_barrier
	s_and_saveexec_b64 s[4:5], vcc
	s_cbranch_execz .LBB2_48
; %bb.47:
	v_add_u32_e32 v17, -4, v17
	ds_read_b32 v46, v17
.LBB2_48:
	s_or_b64 exec, exec, s[4:5]
	v_cmp_gt_u32_e32 vcc, s3, v3
	v_cmp_ne_u32_e64 s[4:5], v33, v1
	s_and_b64 s[4:5], vcc, s[4:5]
	v_cmp_gt_u32_e32 vcc, s3, v4
	v_cndmask_b32_e64 v49, 0, 1, s[4:5]
	v_cmp_ne_u32_e64 s[4:5], v32, v33
	s_and_b64 s[4:5], vcc, s[4:5]
	v_cmp_gt_u32_e32 vcc, s3, v5
	v_cndmask_b32_e64 v50, 0, 1, s[4:5]
	;; [unrolled: 4-line block ×14, first 2 shown]
	s_waitcnt lgkmcnt(0)
	v_cmp_ne_u32_e64 s[4:5], v46, v44
	s_and_b64 s[4:5], vcc, s[4:5]
.LBB2_49:
	s_mov_b64 s[46:47], -1
	s_cbranch_execnz .LBB2_44
.LBB2_50:
	v_lshlrev_b32_e32 v17, 2, v0
	s_and_b64 vcc, exec, s[40:41]
	v_cmp_ne_u32_e64 s[30:31], v33, v1
	v_cmp_ne_u32_e64 s[4:5], v32, v33
	v_cmp_ne_u32_e64 s[6:7], v35, v32
	s_waitcnt lgkmcnt(0)
	v_cmp_ne_u32_e64 s[8:9], v34, v35
	v_cmp_ne_u32_e64 s[10:11], v37, v34
	;; [unrolled: 1-line block ×11, first 2 shown]
	ds_write_b32 v17, v1
	s_cbranch_vccz .LBB2_54
; %bb.51:
	v_cndmask_b32_e64 v49, 0, 1, s[30:31]
	v_cndmask_b32_e64 v50, 0, 1, s[4:5]
	;; [unrolled: 1-line block ×14, first 2 shown]
	v_cmp_ne_u32_e32 vcc, 0, v0
	s_waitcnt lgkmcnt(0)
	s_barrier
	s_waitcnt lgkmcnt(0)
                                        ; implicit-def: $sgpr4_sgpr5
	s_and_saveexec_b64 s[6:7], vcc
	s_xor_b64 s[6:7], exec, s[6:7]
	s_cbranch_execz .LBB2_53
; %bb.52:
	v_add_u32_e32 v46, -4, v17
	ds_read_b32 v46, v46
	s_or_b64 s[46:47], s[46:47], exec
	s_waitcnt lgkmcnt(0)
	v_cmp_ne_u32_e32 vcc, v46, v44
	s_and_b64 s[4:5], vcc, exec
.LBB2_53:
	s_or_b64 exec, exec, s[6:7]
	s_mov_b32 s8, 1
	s_branch .LBB2_58
.LBB2_54:
                                        ; implicit-def: $sgpr4_sgpr5
                                        ; implicit-def: $vgpr49
                                        ; implicit-def: $vgpr50
                                        ; implicit-def: $vgpr51
                                        ; implicit-def: $vgpr52
                                        ; implicit-def: $vgpr53
                                        ; implicit-def: $vgpr54
                                        ; implicit-def: $vgpr55
                                        ; implicit-def: $vgpr62
                                        ; implicit-def: $vgpr61
                                        ; implicit-def: $vgpr60
                                        ; implicit-def: $vgpr59
                                        ; implicit-def: $vgpr58
                                        ; implicit-def: $vgpr57
                                        ; implicit-def: $vgpr56
                                        ; implicit-def: $sgpr8
	s_cbranch_execz .LBB2_58
; %bb.55:
	v_cmp_gt_u32_e32 vcc, s3, v3
	v_cmp_ne_u32_e64 s[4:5], v33, v1
	s_and_b64 s[4:5], vcc, s[4:5]
	v_cmp_gt_u32_e32 vcc, s3, v4
	v_cndmask_b32_e64 v49, 0, 1, s[4:5]
	v_cmp_ne_u32_e64 s[4:5], v32, v33
	s_and_b64 s[4:5], vcc, s[4:5]
	v_cmp_gt_u32_e32 vcc, s3, v5
	v_cndmask_b32_e64 v50, 0, 1, s[4:5]
	;; [unrolled: 4-line block ×13, first 2 shown]
	v_cmp_ne_u32_e64 s[4:5], v44, v45
	s_and_b64 s[4:5], vcc, s[4:5]
	v_cmp_ne_u32_e32 vcc, 0, v0
	v_cndmask_b32_e64 v62, 0, 1, s[4:5]
	s_waitcnt lgkmcnt(0)
	s_barrier
	s_waitcnt lgkmcnt(0)
                                        ; implicit-def: $sgpr4_sgpr5
	s_and_saveexec_b64 s[6:7], vcc
	s_cbranch_execz .LBB2_57
; %bb.56:
	v_add_u32_e32 v17, -4, v17
	ds_read_b32 v17, v17
	v_cmp_gt_u32_e32 vcc, s3, v2
	s_or_b64 s[46:47], s[46:47], exec
	s_waitcnt lgkmcnt(0)
	v_cmp_ne_u32_e64 s[4:5], v17, v44
	s_and_b64 s[4:5], vcc, s[4:5]
	s_and_b64 s[4:5], s[4:5], exec
.LBB2_57:
	s_or_b64 exec, exec, s[6:7]
	s_mov_b32 s8, 1
.LBB2_58:
	s_waitcnt lgkmcnt(0)
	v_mov_b32_e32 v47, s8
	s_and_saveexec_b64 s[6:7], s[46:47]
; %bb.59:
	v_cndmask_b32_e64 v47, 0, 1, s[4:5]
; %bb.60:
	s_or_b64 exec, exec, s[6:7]
	s_load_dwordx2 s[20:21], s[0:1], 0x60
	s_andn2_b64 vcc, exec, s[42:43]
	s_cbranch_vccnz .LBB2_62
; %bb.61:
	v_cmp_gt_u32_e32 vcc, s3, v2
	s_nop 1
	v_cndmask_b32_e32 v47, 0, v47, vcc
	v_cmp_gt_u32_e32 vcc, s3, v16
	s_nop 1
	v_cndmask_b32_e32 v62, 0, v62, vcc
	;; [unrolled: 3-line block ×15, first 2 shown]
.LBB2_62:
	v_and_b32_e32 v68, 0xff, v58
	v_and_b32_e32 v69, 0xff, v57
	;; [unrolled: 1-line block ×5, first 2 shown]
	v_add3_u32 v3, v69, v70, v68
	v_and_b32_e32 v64, 0xff, v62
	v_and_b32_e32 v65, 0xff, v61
	v_add3_u32 v3, v3, v67, v66
	v_and_b32_e32 v63, 0xff, v47
	v_and_b32_e32 v71, 0xff, v55
	;; [unrolled: 3-line block ×5, first 2 shown]
	v_add3_u32 v3, v3, v74, v75
	v_add3_u32 v79, v3, v76, v2
	v_mbcnt_lo_u32_b32 v2, -1, 0
	v_mbcnt_hi_u32_b32 v77, -1, v2
	v_and_b32_e32 v2, 15, v77
	v_cmp_eq_u32_e64 s[14:15], 0, v2
	v_cmp_lt_u32_e64 s[12:13], 1, v2
	v_cmp_lt_u32_e64 s[10:11], 3, v2
	;; [unrolled: 1-line block ×3, first 2 shown]
	v_and_b32_e32 v2, 16, v77
	v_cmp_eq_u32_e64 s[6:7], 0, v2
	v_or_b32_e32 v2, 63, v0
	v_cmp_lt_u32_e64 s[18:19], 31, v77
	v_lshrrev_b32_e32 v78, 6, v0
	v_cmp_eq_u32_e64 s[4:5], v2, v0
	s_and_b64 vcc, exec, s[44:45]
	s_waitcnt lgkmcnt(0)
	s_barrier
	s_cbranch_vccz .LBB2_89
; %bb.63:
	v_mov_b32_dpp v2, v79 row_shr:1 row_mask:0xf bank_mask:0xf
	v_cndmask_b32_e64 v2, v2, 0, s[14:15]
	v_add_u32_e32 v2, v2, v79
	s_nop 1
	v_mov_b32_dpp v3, v2 row_shr:2 row_mask:0xf bank_mask:0xf
	v_cndmask_b32_e64 v3, 0, v3, s[12:13]
	v_add_u32_e32 v2, v2, v3
	s_nop 1
	;; [unrolled: 4-line block ×4, first 2 shown]
	v_mov_b32_dpp v3, v2 row_bcast:15 row_mask:0xf bank_mask:0xf
	v_cndmask_b32_e64 v3, v3, 0, s[6:7]
	v_add_u32_e32 v2, v2, v3
	s_nop 1
	v_mov_b32_dpp v3, v2 row_bcast:31 row_mask:0xf bank_mask:0xf
	v_cndmask_b32_e64 v3, 0, v3, s[18:19]
	v_add_u32_e32 v2, v2, v3
	s_and_saveexec_b64 s[16:17], s[4:5]
	s_cbranch_execz .LBB2_65
; %bb.64:
	v_lshlrev_b32_e32 v3, 2, v78
	ds_write_b32 v3, v2
.LBB2_65:
	s_or_b64 exec, exec, s[16:17]
	v_cmp_gt_u32_e32 vcc, 8, v0
	s_waitcnt lgkmcnt(0)
	s_barrier
	s_and_saveexec_b64 s[16:17], vcc
	s_cbranch_execz .LBB2_67
; %bb.66:
	v_lshlrev_b32_e32 v3, 2, v0
	ds_read_b32 v4, v3
	v_and_b32_e32 v5, 7, v77
	v_cmp_ne_u32_e32 vcc, 0, v5
	s_waitcnt lgkmcnt(0)
	v_mov_b32_dpp v6, v4 row_shr:1 row_mask:0xf bank_mask:0xf
	v_cndmask_b32_e32 v6, 0, v6, vcc
	v_add_u32_e32 v4, v6, v4
	v_cmp_lt_u32_e32 vcc, 1, v5
	s_nop 0
	v_mov_b32_dpp v6, v4 row_shr:2 row_mask:0xf bank_mask:0xf
	v_cndmask_b32_e32 v6, 0, v6, vcc
	v_add_u32_e32 v4, v4, v6
	v_cmp_lt_u32_e32 vcc, 3, v5
	s_nop 0
	v_mov_b32_dpp v6, v4 row_shr:4 row_mask:0xf bank_mask:0xf
	v_cndmask_b32_e32 v5, 0, v6, vcc
	v_add_u32_e32 v4, v4, v5
	ds_write_b32 v3, v4
.LBB2_67:
	s_or_b64 exec, exec, s[16:17]
	v_cmp_gt_u32_e32 vcc, 64, v0
	v_cmp_lt_u32_e64 s[16:17], 63, v0
	s_waitcnt lgkmcnt(0)
	s_barrier
	s_waitcnt lgkmcnt(0)
                                        ; implicit-def: $vgpr12
	s_and_saveexec_b64 s[22:23], s[16:17]
	s_cbranch_execz .LBB2_69
; %bb.68:
	v_lshl_add_u32 v3, v78, 2, -4
	ds_read_b32 v12, v3
	s_waitcnt lgkmcnt(0)
	v_add_u32_e32 v2, v12, v2
.LBB2_69:
	s_or_b64 exec, exec, s[22:23]
	v_add_u32_e32 v3, -1, v77
	v_and_b32_e32 v4, 64, v77
	v_cmp_lt_i32_e64 s[16:17], v3, v4
	s_nop 1
	v_cndmask_b32_e64 v3, v3, v77, s[16:17]
	v_lshlrev_b32_e32 v3, 2, v3
	ds_bpermute_b32 v13, v3, v2
	v_cmp_eq_u32_e64 s[16:17], 0, v77
	s_and_saveexec_b64 s[22:23], vcc
	s_cbranch_execz .LBB2_88
; %bb.70:
	v_mov_b32_e32 v9, 0
	ds_read_b32 v2, v9 offset:28
	s_and_saveexec_b64 s[24:25], s[16:17]
	s_cbranch_execz .LBB2_72
; %bb.71:
	s_add_i32 s26, s2, 64
	s_mov_b32 s27, 0
	s_lshl_b64 s[26:27], s[26:27], 3
	s_add_u32 s26, s20, s26
	v_mov_b32_e32 v3, 1
	s_addc_u32 s27, s21, s27
	s_waitcnt lgkmcnt(0)
	global_store_dwordx2 v9, v[2:3], s[26:27] sc1
.LBB2_72:
	s_or_b64 exec, exec, s[24:25]
	v_xad_u32 v4, v77, -1, s2
	v_add_u32_e32 v8, 64, v4
	v_lshl_add_u64 v[10:11], v[8:9], 3, s[20:21]
	global_load_dwordx2 v[6:7], v[10:11], off sc1
	s_waitcnt vmcnt(0)
	v_cmp_eq_u16_sdwa s[26:27], v7, v9 src0_sel:BYTE_0 src1_sel:DWORD
	s_and_saveexec_b64 s[24:25], s[26:27]
	s_cbranch_execz .LBB2_76
; %bb.73:
	s_mov_b64 s[26:27], 0
	v_mov_b32_e32 v3, 0
.LBB2_74:                               ; =>This Inner Loop Header: Depth=1
	global_load_dwordx2 v[6:7], v[10:11], off sc1
	s_waitcnt vmcnt(0)
	v_cmp_ne_u16_sdwa s[28:29], v7, v3 src0_sel:BYTE_0 src1_sel:DWORD
	s_or_b64 s[26:27], s[28:29], s[26:27]
	s_andn2_b64 exec, exec, s[26:27]
	s_cbranch_execnz .LBB2_74
; %bb.75:
	s_or_b64 exec, exec, s[26:27]
.LBB2_76:
	s_or_b64 exec, exec, s[24:25]
	v_and_b32_e32 v15, 63, v77
	v_mov_b32_e32 v14, 2
	v_cmp_ne_u32_e32 vcc, 63, v15
	v_cmp_eq_u16_sdwa s[24:25], v7, v14 src0_sel:BYTE_0 src1_sel:DWORD
	v_lshlrev_b64 v[8:9], v77, -1
	v_addc_co_u32_e32 v10, vcc, 0, v77, vcc
	v_and_b32_e32 v3, s25, v9
	v_lshlrev_b32_e32 v16, 2, v10
	v_or_b32_e32 v3, 0x80000000, v3
	ds_bpermute_b32 v10, v16, v6
	v_and_b32_e32 v5, s24, v8
	v_ffbl_b32_e32 v3, v3
	v_add_u32_e32 v3, 32, v3
	v_ffbl_b32_e32 v5, v5
	v_min_u32_e32 v3, v5, v3
	v_cmp_lt_u32_e32 vcc, v15, v3
	v_add_u32_e32 v46, 2, v15
	v_add_u32_e32 v81, 4, v15
	s_waitcnt lgkmcnt(0)
	v_cndmask_b32_e32 v5, 0, v10, vcc
	v_cmp_gt_u32_e32 vcc, 62, v15
	v_add_u32_e32 v5, v5, v6
	v_add_u32_e32 v83, 8, v15
	v_cndmask_b32_e64 v6, 0, 1, vcc
	v_lshlrev_b32_e32 v6, 1, v6
	v_add_lshl_u32 v17, v6, v77, 2
	ds_bpermute_b32 v6, v17, v5
	v_cmp_le_u32_e32 vcc, v46, v3
	v_add_u32_e32 v85, 16, v15
	v_add_u32_e32 v87, 32, v15
	s_waitcnt lgkmcnt(0)
	v_cndmask_b32_e32 v6, 0, v6, vcc
	v_cmp_gt_u32_e32 vcc, 60, v15
	v_add_u32_e32 v5, v5, v6
	s_nop 0
	v_cndmask_b32_e64 v6, 0, 1, vcc
	v_lshlrev_b32_e32 v6, 2, v6
	v_add_lshl_u32 v80, v6, v77, 2
	ds_bpermute_b32 v6, v80, v5
	v_cmp_le_u32_e32 vcc, v81, v3
	s_waitcnt lgkmcnt(0)
	s_nop 0
	v_cndmask_b32_e32 v6, 0, v6, vcc
	v_cmp_gt_u32_e32 vcc, 56, v15
	v_add_u32_e32 v5, v5, v6
	s_nop 0
	v_cndmask_b32_e64 v6, 0, 1, vcc
	v_lshlrev_b32_e32 v6, 3, v6
	v_add_lshl_u32 v82, v6, v77, 2
	ds_bpermute_b32 v6, v82, v5
	v_cmp_le_u32_e32 vcc, v83, v3
	s_waitcnt lgkmcnt(0)
	s_nop 0
	;; [unrolled: 11-line block ×4, first 2 shown]
	v_cndmask_b32_e32 v3, 0, v6, vcc
	v_add_u32_e32 v6, v5, v3
	v_mov_b32_e32 v5, 0
	s_branch .LBB2_78
.LBB2_77:                               ;   in Loop: Header=BB2_78 Depth=1
	s_or_b64 exec, exec, s[24:25]
	v_cmp_eq_u16_sdwa s[24:25], v7, v14 src0_sel:BYTE_0 src1_sel:DWORD
	ds_bpermute_b32 v88, v16, v6
	v_subrev_u32_e32 v4, 64, v4
	v_and_b32_e32 v10, s25, v9
	v_or_b32_e32 v10, 0x80000000, v10
	v_and_b32_e32 v11, s24, v8
	v_ffbl_b32_e32 v10, v10
	v_add_u32_e32 v10, 32, v10
	v_ffbl_b32_e32 v11, v11
	v_min_u32_e32 v10, v11, v10
	v_cmp_lt_u32_e32 vcc, v15, v10
	s_waitcnt lgkmcnt(0)
	s_nop 0
	v_cndmask_b32_e32 v11, 0, v88, vcc
	v_add_u32_e32 v6, v11, v6
	ds_bpermute_b32 v11, v17, v6
	v_cmp_le_u32_e32 vcc, v46, v10
	s_waitcnt lgkmcnt(0)
	s_nop 0
	v_cndmask_b32_e32 v11, 0, v11, vcc
	v_add_u32_e32 v6, v6, v11
	ds_bpermute_b32 v11, v80, v6
	v_cmp_le_u32_e32 vcc, v81, v10
	;; [unrolled: 6-line block ×5, first 2 shown]
	s_waitcnt lgkmcnt(0)
	s_nop 0
	v_cndmask_b32_e32 v10, 0, v11, vcc
	v_add3_u32 v6, v10, v3, v6
.LBB2_78:                               ; =>This Loop Header: Depth=1
                                        ;     Child Loop BB2_81 Depth 2
	v_cmp_ne_u16_sdwa s[24:25], v7, v14 src0_sel:BYTE_0 src1_sel:DWORD
	s_nop 1
	v_cndmask_b32_e64 v3, 0, 1, s[24:25]
	;;#ASMSTART
	;;#ASMEND
	s_nop 0
	v_cmp_ne_u32_e32 vcc, 0, v3
	s_cmp_lg_u64 vcc, exec
	v_mov_b32_e32 v3, v6
	s_cbranch_scc1 .LBB2_83
; %bb.79:                               ;   in Loop: Header=BB2_78 Depth=1
	v_lshl_add_u64 v[10:11], v[4:5], 3, s[20:21]
	global_load_dwordx2 v[6:7], v[10:11], off sc1
	s_waitcnt vmcnt(0)
	v_cmp_eq_u16_sdwa s[26:27], v7, v5 src0_sel:BYTE_0 src1_sel:DWORD
	s_and_saveexec_b64 s[24:25], s[26:27]
	s_cbranch_execz .LBB2_77
; %bb.80:                               ;   in Loop: Header=BB2_78 Depth=1
	s_mov_b64 s[26:27], 0
.LBB2_81:                               ;   Parent Loop BB2_78 Depth=1
                                        ; =>  This Inner Loop Header: Depth=2
	global_load_dwordx2 v[6:7], v[10:11], off sc1
	s_waitcnt vmcnt(0)
	v_cmp_ne_u16_sdwa s[28:29], v7, v5 src0_sel:BYTE_0 src1_sel:DWORD
	s_or_b64 s[26:27], s[28:29], s[26:27]
	s_andn2_b64 exec, exec, s[26:27]
	s_cbranch_execnz .LBB2_81
; %bb.82:                               ;   in Loop: Header=BB2_78 Depth=1
	s_or_b64 exec, exec, s[26:27]
	s_branch .LBB2_77
.LBB2_83:                               ;   in Loop: Header=BB2_78 Depth=1
                                        ; implicit-def: $vgpr6
                                        ; implicit-def: $vgpr7
	s_cbranch_execz .LBB2_78
; %bb.84:
	s_and_saveexec_b64 s[24:25], s[16:17]
	s_cbranch_execz .LBB2_86
; %bb.85:
	s_add_i32 s2, s2, 64
	s_mov_b32 s3, 0
	s_lshl_b64 s[2:3], s[2:3], 3
	s_add_u32 s2, s20, s2
	v_add_u32_e32 v4, v3, v2
	v_mov_b32_e32 v5, 2
	s_addc_u32 s3, s21, s3
	v_mov_b32_e32 v6, 0
	global_store_dwordx2 v6, v[4:5], s[2:3] sc1
	ds_write_b64 v6, v[2:3] offset:30720
.LBB2_86:
	s_or_b64 exec, exec, s[24:25]
	v_cmp_eq_u32_e32 vcc, 0, v0
	s_and_b64 exec, exec, vcc
	s_cbranch_execz .LBB2_88
; %bb.87:
	v_mov_b32_e32 v2, 0
	ds_write_b32 v2, v3 offset:28
.LBB2_88:
	s_or_b64 exec, exec, s[22:23]
	v_mov_b32_e32 v14, 0
	s_waitcnt lgkmcnt(0)
	s_barrier
	ds_read_b32 v2, v14 offset:28
	v_cndmask_b32_e64 v3, v13, v12, s[16:17]
	v_cmp_ne_u32_e32 vcc, 0, v0
	s_waitcnt lgkmcnt(0)
	s_barrier
	v_cndmask_b32_e32 v3, 0, v3, vcc
	v_add_u32_e32 v2, v2, v3
	v_add_u32_e32 v3, v2, v63
	;; [unrolled: 1-line block ×10, first 2 shown]
	ds_read_b64 v[80:81], v14 offset:30720
	v_add_u32_e32 v12, v11, v72
	v_add_u32_e32 v13, v12, v73
	;; [unrolled: 1-line block ×5, first 2 shown]
	s_waitcnt lgkmcnt(0)
	v_readfirstlane_b32 s16, v80
	v_mov_b32_e32 v46, v81
	s_branch .LBB2_99
.LBB2_89:
                                        ; implicit-def: $vgpr46
                                        ; implicit-def: $sgpr16
                                        ; implicit-def: $vgpr2_vgpr3_vgpr4_vgpr5_vgpr6_vgpr7_vgpr8_vgpr9_vgpr10_vgpr11_vgpr12_vgpr13_vgpr14_vgpr15_vgpr16_vgpr17
	s_cbranch_execz .LBB2_99
; %bb.90:
	s_nop 0
	v_mov_b32_dpp v2, v79 row_shr:1 row_mask:0xf bank_mask:0xf
	v_cndmask_b32_e64 v2, v2, 0, s[14:15]
	v_add_u32_e32 v2, v2, v79
	s_nop 1
	v_mov_b32_dpp v3, v2 row_shr:2 row_mask:0xf bank_mask:0xf
	v_cndmask_b32_e64 v3, 0, v3, s[12:13]
	v_add_u32_e32 v2, v2, v3
	;; [unrolled: 4-line block ×4, first 2 shown]
	s_nop 1
	v_mov_b32_dpp v3, v2 row_bcast:15 row_mask:0xf bank_mask:0xf
	v_cndmask_b32_e64 v3, v3, 0, s[6:7]
	v_add_u32_e32 v2, v2, v3
	s_nop 1
	v_mov_b32_dpp v3, v2 row_bcast:31 row_mask:0xf bank_mask:0xf
	v_cndmask_b32_e64 v3, 0, v3, s[18:19]
	v_add_u32_e32 v2, v2, v3
	s_and_saveexec_b64 s[2:3], s[4:5]
	s_cbranch_execz .LBB2_92
; %bb.91:
	v_lshlrev_b32_e32 v3, 2, v78
	ds_write_b32 v3, v2
.LBB2_92:
	s_or_b64 exec, exec, s[2:3]
	v_cmp_gt_u32_e32 vcc, 8, v0
	s_waitcnt lgkmcnt(0)
	s_barrier
	s_and_saveexec_b64 s[2:3], vcc
	s_cbranch_execz .LBB2_94
; %bb.93:
	v_lshlrev_b32_e32 v3, 2, v0
	ds_read_b32 v4, v3
	v_and_b32_e32 v5, 7, v77
	v_cmp_ne_u32_e32 vcc, 0, v5
	s_waitcnt lgkmcnt(0)
	v_mov_b32_dpp v6, v4 row_shr:1 row_mask:0xf bank_mask:0xf
	v_cndmask_b32_e32 v6, 0, v6, vcc
	v_add_u32_e32 v4, v6, v4
	v_cmp_lt_u32_e32 vcc, 1, v5
	s_nop 0
	v_mov_b32_dpp v6, v4 row_shr:2 row_mask:0xf bank_mask:0xf
	v_cndmask_b32_e32 v6, 0, v6, vcc
	v_add_u32_e32 v4, v4, v6
	v_cmp_lt_u32_e32 vcc, 3, v5
	s_nop 0
	v_mov_b32_dpp v6, v4 row_shr:4 row_mask:0xf bank_mask:0xf
	v_cndmask_b32_e32 v5, 0, v6, vcc
	v_add_u32_e32 v4, v4, v5
	ds_write_b32 v3, v4
.LBB2_94:
	s_or_b64 exec, exec, s[2:3]
	v_cmp_lt_u32_e32 vcc, 63, v0
	v_mov_b32_e32 v4, 0
	v_mov_b32_e32 v3, 0
	s_waitcnt lgkmcnt(0)
	s_barrier
	s_and_saveexec_b64 s[2:3], vcc
	s_cbranch_execz .LBB2_96
; %bb.95:
	v_lshl_add_u32 v3, v78, 2, -4
	ds_read_b32 v3, v3
.LBB2_96:
	s_or_b64 exec, exec, s[2:3]
	v_add_u32_e32 v5, -1, v77
	v_and_b32_e32 v6, 64, v77
	v_cmp_lt_i32_e32 vcc, v5, v6
	s_waitcnt lgkmcnt(0)
	v_add_u32_e32 v2, v3, v2
	ds_read_b32 v4, v4 offset:28
	v_cndmask_b32_e32 v5, v5, v77, vcc
	v_lshlrev_b32_e32 v5, 2, v5
	ds_bpermute_b32 v2, v5, v2
	v_cmp_eq_u32_e32 vcc, 0, v0
	s_waitcnt lgkmcnt(1)
	v_readfirstlane_b32 s16, v4
	s_and_saveexec_b64 s[2:3], vcc
	s_cbranch_execz .LBB2_98
; %bb.97:
	v_mov_b32_e32 v6, 0
	v_mov_b32_e32 v4, s16
	;; [unrolled: 1-line block ×3, first 2 shown]
	global_store_dwordx2 v6, v[4:5], s[20:21] offset:512 sc1
.LBB2_98:
	s_or_b64 exec, exec, s[2:3]
	v_cmp_eq_u32_e64 s[2:3], 0, v77
	v_mov_b32_e32 v46, 0
	s_waitcnt lgkmcnt(0)
	v_cndmask_b32_e64 v2, v2, v3, s[2:3]
	v_cndmask_b32_e64 v2, v2, 0, vcc
	v_add_u32_e32 v3, v2, v63
	v_add_u32_e32 v4, v3, v64
	;; [unrolled: 1-line block ×14, first 2 shown]
	s_barrier
.LBB2_99:
	s_load_dwordx4 s[4:7], s[0:1], 0x28
	s_cmpk_lt_u32 s16, 0x201
	s_cselect_b64 s[2:3], -1, 0
	v_add_u32_e32 v63, s16, v46
	s_mov_b64 s[8:9], -1
	s_and_b64 vcc, exec, s[2:3]
	v_cmp_lt_u32_e64 s[0:1], v2, v63
	s_cbranch_vccz .LBB2_146
; %bb.100:
	s_lshl_b64 s[8:9], s[34:35], 2
	s_waitcnt lgkmcnt(0)
	s_add_u32 s8, s4, s8
	s_addc_u32 s9, s5, s9
	s_or_b64 s[10:11], s[40:41], s[0:1]
	s_and_saveexec_b64 s[0:1], s[10:11]
	s_cbranch_execz .LBB2_103
; %bb.101:
	v_and_b32_e32 v17, 1, v47
	v_cmp_eq_u32_e32 vcc, 1, v17
	s_and_b64 exec, exec, vcc
	s_cbranch_execz .LBB2_103
; %bb.102:
	v_mov_b32_e32 v65, 0
	v_mov_b32_e32 v64, v2
	v_lshl_add_u64 v[64:65], v[64:65], 2, s[8:9]
	global_store_dword v[64:65], v44, off
.LBB2_103:
	s_or_b64 exec, exec, s[0:1]
	v_cmp_lt_u32_e32 vcc, v3, v63
	s_or_b64 s[10:11], s[40:41], vcc
	s_and_saveexec_b64 s[0:1], s[10:11]
	s_cbranch_execz .LBB2_106
; %bb.104:
	v_and_b32_e32 v17, 1, v62
	v_cmp_eq_u32_e32 vcc, 1, v17
	s_and_b64 exec, exec, vcc
	s_cbranch_execz .LBB2_106
; %bb.105:
	v_mov_b32_e32 v65, 0
	v_mov_b32_e32 v64, v3
	v_lshl_add_u64 v[64:65], v[64:65], 2, s[8:9]
	global_store_dword v[64:65], v45, off
.LBB2_106:
	s_or_b64 exec, exec, s[0:1]
	v_cmp_lt_u32_e32 vcc, v4, v63
	s_or_b64 s[10:11], s[40:41], vcc
	;; [unrolled: 16-line block ×14, first 2 shown]
	s_and_saveexec_b64 s[0:1], s[10:11]
	s_cbranch_execz .LBB2_145
; %bb.143:
	v_and_b32_e32 v17, 1, v49
	v_cmp_eq_u32_e32 vcc, 1, v17
	s_and_b64 exec, exec, vcc
	s_cbranch_execz .LBB2_145
; %bb.144:
	v_mov_b32_e32 v17, 0
	v_lshl_add_u64 v[64:65], v[16:17], 2, s[8:9]
	global_store_dword v[64:65], v1, off
.LBB2_145:
	s_or_b64 exec, exec, s[0:1]
	s_mov_b64 s[8:9], 0
.LBB2_146:
	v_and_b32_e32 v64, 1, v47
	s_and_b64 vcc, exec, s[8:9]
	v_cmp_eq_u32_e64 s[0:1], 1, v64
	s_cbranch_vccz .LBB2_191
; %bb.147:
	s_and_saveexec_b64 s[8:9], s[0:1]
	s_cbranch_execz .LBB2_149
; %bb.148:
	v_sub_u32_e32 v17, v2, v46
	v_lshlrev_b32_e32 v17, 2, v17
	ds_write_b32 v17, v44
.LBB2_149:
	s_or_b64 exec, exec, s[8:9]
	v_and_b32_e32 v17, 1, v62
	v_cmp_eq_u32_e32 vcc, 1, v17
	s_and_saveexec_b64 s[0:1], vcc
	s_cbranch_execz .LBB2_151
; %bb.150:
	v_sub_u32_e32 v17, v3, v46
	v_lshlrev_b32_e32 v17, 2, v17
	ds_write_b32 v17, v45
.LBB2_151:
	s_or_b64 exec, exec, s[0:1]
	v_and_b32_e32 v17, 1, v61
	v_cmp_eq_u32_e32 vcc, 1, v17
	s_and_saveexec_b64 s[0:1], vcc
	;; [unrolled: 10-line block ×14, first 2 shown]
	s_cbranch_execz .LBB2_177
; %bb.176:
	v_sub_u32_e32 v17, v16, v46
	v_lshlrev_b32_e32 v17, 2, v17
	ds_write_b32 v17, v1
.LBB2_177:
	s_or_b64 exec, exec, s[0:1]
	v_cmp_gt_u32_e32 vcc, s16, v0
	s_waitcnt lgkmcnt(0)
	s_barrier
	s_and_saveexec_b64 s[0:1], vcc
	s_cbranch_execz .LBB2_190
; %bb.178:
	s_lshl_b64 s[8:9], s[34:35], 2
	v_mov_b32_e32 v47, 0
	s_add_u32 s4, s4, s8
	s_addc_u32 s5, s5, s9
	v_lshlrev_b64 v[32:33], 2, v[46:47]
	v_lshl_add_u64 v[32:33], s[4:5], 0, v[32:33]
	v_xad_u32 v1, v0, -1, s16
	s_movk_i32 s4, 0x1ff
	v_cmp_lt_u32_e32 vcc, s4, v1
	s_mov_b64 s[8:9], -1
	v_mov_b32_e32 v34, v0
	s_and_saveexec_b64 s[4:5], vcc
	s_cbranch_execz .LBB2_187
; %bb.179:
	v_lshrrev_b32_e32 v17, 9, v1
	v_add_u32_e32 v34, -1, v17
	v_or_b32_e32 v1, 0x200, v0
	v_lshrrev_b32_e32 v35, 1, v34
	v_add_u32_e32 v38, 1, v35
	v_cmp_lt_u32_e32 vcc, 13, v34
	v_mov_b64_e32 v[34:35], v[0:1]
	s_and_saveexec_b64 s[8:9], vcc
	s_cbranch_execz .LBB2_183
; %bb.180:
	v_and_b32_e32 v39, -8, v38
	v_lshlrev_b32_e32 v40, 2, v0
	s_mov_b32 s12, 0
	s_mov_b64 s[10:11], 0
	v_mov_b32_e32 v37, 0
	v_mov_b64_e32 v[34:35], v[0:1]
.LBB2_181:                              ; =>This Inner Loop Header: Depth=1
	ds_read2st64_b32 v[42:43], v40 offset1:8
	v_mov_b32_e32 v36, v34
	ds_read2st64_b32 v[74:75], v40 offset0:48 offset1:56
	v_lshl_add_u64 v[92:93], v[36:37], 2, v[32:33]
	v_mov_b32_e32 v36, v35
	ds_read2st64_b32 v[66:67], v40 offset0:16 offset1:24
	ds_read2st64_b32 v[78:79], v40 offset0:64 offset1:72
	v_lshl_add_u64 v[94:95], v[36:37], 2, v[32:33]
	v_add_u32_e32 v36, 0x400, v34
	ds_read2st64_b32 v[82:83], v40 offset0:80 offset1:88
	v_lshl_add_u64 v[96:97], v[36:37], 2, v[32:33]
	v_add_u32_e32 v36, 0x800, v34
	v_add_u32_e32 v44, 0x400, v35
	v_mov_b32_e32 v45, v37
	v_add_u32_e32 v68, 0x800, v35
	ds_read2st64_b32 v[70:71], v40 offset0:32 offset1:40
	v_mov_b32_e32 v69, v37
	ds_read2st64_b32 v[86:87], v40 offset0:96 offset1:104
	v_lshl_add_u64 v[98:99], v[36:37], 2, v[32:33]
	v_add_u32_e32 v36, 0xc00, v34
	v_add_u32_e32 v72, 0xc00, v35
	v_mov_b32_e32 v73, v37
	ds_read2st64_b32 v[90:91], v40 offset0:112 offset1:120
	v_lshl_add_u64 v[44:45], v[44:45], 2, v[32:33]
	v_lshl_add_u64 v[68:69], v[68:69], 2, v[32:33]
	s_waitcnt lgkmcnt(7)
	global_store_dword v[92:93], v42, off
	global_store_dword v[94:95], v43, off
	s_waitcnt lgkmcnt(5)
	global_store_dword v[96:97], v66, off
	global_store_dword v[44:45], v67, off
	;; [unrolled: 3-line block ×3, first 2 shown]
	v_lshl_add_u64 v[42:43], v[36:37], 2, v[32:33]
	v_add_u32_e32 v36, 0x1000, v34
	v_add_u32_e32 v76, 0x1000, v35
	v_mov_b32_e32 v77, v37
	v_lshl_add_u64 v[72:73], v[72:73], 2, v[32:33]
	global_store_dword v[42:43], v74, off
	global_store_dword v[72:73], v75, off
	v_lshl_add_u64 v[42:43], v[36:37], 2, v[32:33]
	v_add_u32_e32 v36, 0x1400, v34
	v_add_u32_e32 v80, 0x1400, v35
	v_mov_b32_e32 v81, v37
	v_add_u32_e32 v39, -8, v39
	v_lshl_add_u64 v[76:77], v[76:77], 2, v[32:33]
	global_store_dword v[42:43], v78, off
	global_store_dword v[76:77], v79, off
	v_lshl_add_u64 v[42:43], v[36:37], 2, v[32:33]
	v_add_u32_e32 v36, 0x1800, v34
	v_add_u32_e32 v84, 0x1800, v35
	v_mov_b32_e32 v85, v37
	s_add_i32 s12, s12, 16
	v_lshl_add_u64 v[80:81], v[80:81], 2, v[32:33]
	v_cmp_eq_u32_e32 vcc, 0, v39
	global_store_dword v[42:43], v82, off
	global_store_dword v[80:81], v83, off
	v_lshl_add_u64 v[42:43], v[36:37], 2, v[32:33]
	v_add_u32_e32 v36, 0x1c00, v34
	v_add_u32_e32 v88, 0x1c00, v35
	v_mov_b32_e32 v89, v37
	v_add_u32_e32 v40, 0x8000, v40
	v_lshl_add_u64 v[84:85], v[84:85], 2, v[32:33]
	v_add_u32_e32 v35, 0x2000, v35
	v_mov_b32_e32 v47, s12
	s_or_b64 s[10:11], vcc, s[10:11]
	v_add_u32_e32 v34, 0x2000, v34
	s_waitcnt lgkmcnt(1)
	global_store_dword v[42:43], v86, off
	global_store_dword v[84:85], v87, off
	v_lshl_add_u64 v[42:43], v[36:37], 2, v[32:33]
	v_lshl_add_u64 v[88:89], v[88:89], 2, v[32:33]
	s_waitcnt lgkmcnt(0)
	global_store_dword v[42:43], v90, off
	global_store_dword v[88:89], v91, off
	s_andn2_b64 exec, exec, s[10:11]
	s_cbranch_execnz .LBB2_181
; %bb.182:
	s_or_b64 exec, exec, s[10:11]
.LBB2_183:
	s_or_b64 exec, exec, s[8:9]
	v_and_b32_e32 v1, 7, v38
	v_cmp_ne_u32_e32 vcc, 0, v1
	s_and_saveexec_b64 s[8:9], vcc
	s_cbranch_execz .LBB2_186
; %bb.184:
	v_lshlrev_b32_e32 v36, 2, v0
	v_lshl_or_b32 v38, v47, 11, v36
	s_mov_b64 s[10:11], 0
	v_mov_b32_e32 v37, 0
.LBB2_185:                              ; =>This Inner Loop Header: Depth=1
	ds_read2st64_b32 v[40:41], v38 offset1:8
	v_add_u32_e32 v1, -1, v1
	v_mov_b32_e32 v36, v34
	v_cmp_eq_u32_e32 vcc, 0, v1
	v_add_u32_e32 v34, 0x400, v34
	v_add_u32_e32 v38, 0x1000, v38
	v_lshl_add_u64 v[42:43], v[36:37], 2, v[32:33]
	v_mov_b32_e32 v36, v35
	v_add_u32_e32 v35, 0x400, v35
	s_or_b64 s[10:11], vcc, s[10:11]
	v_lshl_add_u64 v[44:45], v[36:37], 2, v[32:33]
	s_waitcnt lgkmcnt(0)
	global_store_dword v[42:43], v40, off
	global_store_dword v[44:45], v41, off
	s_andn2_b64 exec, exec, s[10:11]
	s_cbranch_execnz .LBB2_185
.LBB2_186:
	s_or_b64 exec, exec, s[8:9]
	v_add_u32_e32 v1, 1, v17
	v_and_b32_e32 v17, 0xfffffe, v1
	v_cmp_ne_u32_e32 vcc, v1, v17
	v_lshl_or_b32 v34, v17, 9, v0
	s_orn2_b64 s[8:9], vcc, exec
.LBB2_187:
	s_or_b64 exec, exec, s[4:5]
	s_and_b64 exec, exec, s[8:9]
	s_cbranch_execz .LBB2_190
; %bb.188:
	v_lshlrev_b32_e32 v1, 2, v34
	s_mov_b64 s[4:5], 0
	v_mov_b32_e32 v35, 0
.LBB2_189:                              ; =>This Inner Loop Header: Depth=1
	ds_read_b32 v17, v1
	v_lshl_add_u64 v[36:37], v[34:35], 2, v[32:33]
	v_add_u32_e32 v34, 0x200, v34
	v_cmp_le_u32_e32 vcc, s16, v34
	v_add_u32_e32 v1, 0x800, v1
	s_or_b64 s[4:5], vcc, s[4:5]
	s_waitcnt lgkmcnt(0)
	global_store_dword v[36:37], v17, off
	s_andn2_b64 exec, exec, s[4:5]
	s_cbranch_execnz .LBB2_189
.LBB2_190:
	s_or_b64 exec, exec, s[0:1]
.LBB2_191:
	s_mov_b64 s[0:1], -1
	s_and_b64 vcc, exec, s[2:3]
	s_waitcnt lgkmcnt(0)
	s_barrier
	s_cbranch_vccnz .LBB2_195
; %bb.192:
	s_and_b64 vcc, exec, s[0:1]
	s_cbranch_vccnz .LBB2_241
.LBB2_193:
	v_cmp_eq_u32_e32 vcc, 0, v0
	s_and_b64 s[0:1], vcc, s[38:39]
	s_and_saveexec_b64 s[2:3], s[0:1]
	s_cbranch_execnz .LBB2_285
.LBB2_194:
	s_endpgm
.LBB2_195:
	s_lshl_b64 s[0:1], s[34:35], 2
	s_add_u32 s0, s6, s0
	v_cmp_lt_u32_e32 vcc, v2, v63
	s_addc_u32 s1, s7, s1
	s_or_b64 s[4:5], s[40:41], vcc
	s_and_saveexec_b64 s[2:3], s[4:5]
	s_cbranch_execz .LBB2_198
; %bb.196:
	v_cmp_eq_u32_e32 vcc, 1, v64
	s_and_b64 exec, exec, vcc
	s_cbranch_execz .LBB2_198
; %bb.197:
	v_mov_b32_e32 v33, 0
	v_mov_b32_e32 v32, v2
	v_lshl_add_u64 v[32:33], v[32:33], 2, s[0:1]
	global_store_dword v[32:33], v30, off
.LBB2_198:
	s_or_b64 exec, exec, s[2:3]
	v_cmp_lt_u32_e32 vcc, v3, v63
	s_or_b64 s[4:5], s[40:41], vcc
	s_and_saveexec_b64 s[2:3], s[4:5]
	s_cbranch_execz .LBB2_201
; %bb.199:
	v_and_b32_e32 v1, 1, v62
	v_cmp_eq_u32_e32 vcc, 1, v1
	s_and_b64 exec, exec, vcc
	s_cbranch_execz .LBB2_201
; %bb.200:
	v_mov_b32_e32 v33, 0
	v_mov_b32_e32 v32, v3
	v_lshl_add_u64 v[32:33], v[32:33], 2, s[0:1]
	global_store_dword v[32:33], v31, off
.LBB2_201:
	s_or_b64 exec, exec, s[2:3]
	v_cmp_lt_u32_e32 vcc, v4, v63
	s_or_b64 s[4:5], s[40:41], vcc
	s_and_saveexec_b64 s[2:3], s[4:5]
	s_cbranch_execz .LBB2_204
; %bb.202:
	v_and_b32_e32 v1, 1, v61
	v_cmp_eq_u32_e32 vcc, 1, v1
	s_and_b64 exec, exec, vcc
	s_cbranch_execz .LBB2_204
; %bb.203:
	v_mov_b32_e32 v33, 0
	v_mov_b32_e32 v32, v4
	v_lshl_add_u64 v[32:33], v[32:33], 2, s[0:1]
	global_store_dword v[32:33], v28, off
.LBB2_204:
	;; [unrolled: 16-line block ×13, first 2 shown]
	s_or_b64 exec, exec, s[2:3]
	v_cmp_lt_u32_e32 vcc, v16, v63
	s_or_b64 s[4:5], s[40:41], vcc
	s_and_saveexec_b64 s[2:3], s[4:5]
	s_cbranch_execz .LBB2_240
; %bb.238:
	v_and_b32_e32 v1, 1, v49
	v_cmp_eq_u32_e32 vcc, 1, v1
	s_and_b64 exec, exec, vcc
	s_cbranch_execz .LBB2_240
; %bb.239:
	v_mov_b32_e32 v17, 0
	v_lshl_add_u64 v[32:33], v[16:17], 2, s[0:1]
	global_store_dword v[32:33], v48, off
.LBB2_240:
	s_or_b64 exec, exec, s[2:3]
	s_branch .LBB2_193
.LBB2_241:
	v_cmp_eq_u32_e32 vcc, 1, v64
	s_and_saveexec_b64 s[0:1], vcc
	s_cbranch_execz .LBB2_243
; %bb.242:
	v_sub_u32_e32 v1, v2, v46
	v_lshlrev_b32_e32 v1, 2, v1
	ds_write_b32 v1, v30
.LBB2_243:
	s_or_b64 exec, exec, s[0:1]
	v_and_b32_e32 v1, 1, v62
	v_cmp_eq_u32_e32 vcc, 1, v1
	s_and_saveexec_b64 s[0:1], vcc
	s_cbranch_execz .LBB2_245
; %bb.244:
	v_sub_u32_e32 v1, v3, v46
	v_lshlrev_b32_e32 v1, 2, v1
	ds_write_b32 v1, v31
.LBB2_245:
	s_or_b64 exec, exec, s[0:1]
	v_and_b32_e32 v1, 1, v61
	;; [unrolled: 10-line block ×14, first 2 shown]
	v_cmp_eq_u32_e32 vcc, 1, v1
	s_and_saveexec_b64 s[0:1], vcc
	s_cbranch_execz .LBB2_271
; %bb.270:
	v_sub_u32_e32 v1, v16, v46
	v_lshlrev_b32_e32 v1, 2, v1
	ds_write_b32 v1, v48
.LBB2_271:
	s_or_b64 exec, exec, s[0:1]
	v_cmp_gt_u32_e32 vcc, s16, v0
	s_waitcnt lgkmcnt(0)
	s_barrier
	s_and_saveexec_b64 s[0:1], vcc
	s_cbranch_execz .LBB2_284
; %bb.272:
	s_lshl_b64 s[2:3], s[34:35], 2
	v_mov_b32_e32 v47, 0
	s_add_u32 s2, s6, s2
	s_addc_u32 s3, s7, s3
	v_lshlrev_b64 v[2:3], 2, v[46:47]
	v_lshl_add_u64 v[2:3], s[2:3], 0, v[2:3]
	v_xad_u32 v1, v0, -1, s16
	s_movk_i32 s2, 0x1ff
	v_cmp_lt_u32_e32 vcc, s2, v1
	s_mov_b64 s[4:5], -1
	v_mov_b32_e32 v4, v0
	s_and_saveexec_b64 s[2:3], vcc
	s_cbranch_execz .LBB2_281
; %bb.273:
	v_lshrrev_b32_e32 v8, 9, v1
	v_add_u32_e32 v4, -1, v8
	v_or_b32_e32 v1, 0x200, v0
	v_lshrrev_b32_e32 v5, 1, v4
	v_add_u32_e32 v10, 1, v5
	v_cmp_lt_u32_e32 vcc, 13, v4
	v_lshlrev_b32_e32 v9, 2, v0
	v_mov_b64_e32 v[4:5], v[0:1]
	s_and_saveexec_b64 s[4:5], vcc
	s_cbranch_execz .LBB2_277
; %bb.274:
	v_and_b32_e32 v11, -8, v10
	s_mov_b32 s8, 0
	s_mov_b64 s[6:7], 0
	v_mov_b32_e32 v7, 0
	v_mov_b32_e32 v12, v9
	v_mov_b64_e32 v[4:5], v[0:1]
.LBB2_275:                              ; =>This Inner Loop Header: Depth=1
	ds_read2st64_b32 v[14:15], v12 offset1:8
	v_mov_b32_e32 v6, v4
	ds_read2st64_b32 v[26:27], v12 offset0:48 offset1:56
	v_lshl_add_u64 v[44:45], v[6:7], 2, v[2:3]
	v_mov_b32_e32 v6, v5
	ds_read2st64_b32 v[18:19], v12 offset0:16 offset1:24
	ds_read2st64_b32 v[30:31], v12 offset0:64 offset1:72
	v_lshl_add_u64 v[48:49], v[6:7], 2, v[2:3]
	v_add_u32_e32 v6, 0x400, v4
	ds_read2st64_b32 v[34:35], v12 offset0:80 offset1:88
	v_lshl_add_u64 v[50:51], v[6:7], 2, v[2:3]
	v_add_u32_e32 v6, 0x800, v4
	v_add_u32_e32 v16, 0x400, v5
	v_mov_b32_e32 v17, v7
	v_add_u32_e32 v20, 0x800, v5
	ds_read2st64_b32 v[22:23], v12 offset0:32 offset1:40
	v_mov_b32_e32 v21, v7
	ds_read2st64_b32 v[38:39], v12 offset0:96 offset1:104
	v_lshl_add_u64 v[52:53], v[6:7], 2, v[2:3]
	v_add_u32_e32 v6, 0xc00, v4
	v_add_u32_e32 v24, 0xc00, v5
	v_mov_b32_e32 v25, v7
	ds_read2st64_b32 v[42:43], v12 offset0:112 offset1:120
	v_lshl_add_u64 v[16:17], v[16:17], 2, v[2:3]
	v_lshl_add_u64 v[20:21], v[20:21], 2, v[2:3]
	s_waitcnt lgkmcnt(7)
	global_store_dword v[44:45], v14, off
	global_store_dword v[48:49], v15, off
	s_waitcnt lgkmcnt(5)
	global_store_dword v[50:51], v18, off
	global_store_dword v[16:17], v19, off
	;; [unrolled: 3-line block ×3, first 2 shown]
	v_lshl_add_u64 v[14:15], v[6:7], 2, v[2:3]
	v_add_u32_e32 v6, 0x1000, v4
	v_add_u32_e32 v28, 0x1000, v5
	v_mov_b32_e32 v29, v7
	v_lshl_add_u64 v[24:25], v[24:25], 2, v[2:3]
	global_store_dword v[14:15], v26, off
	global_store_dword v[24:25], v27, off
	v_lshl_add_u64 v[14:15], v[6:7], 2, v[2:3]
	v_add_u32_e32 v6, 0x1400, v4
	v_add_u32_e32 v32, 0x1400, v5
	v_mov_b32_e32 v33, v7
	v_add_u32_e32 v11, -8, v11
	v_lshl_add_u64 v[28:29], v[28:29], 2, v[2:3]
	global_store_dword v[14:15], v30, off
	global_store_dword v[28:29], v31, off
	v_lshl_add_u64 v[14:15], v[6:7], 2, v[2:3]
	v_add_u32_e32 v6, 0x1800, v4
	v_add_u32_e32 v36, 0x1800, v5
	v_mov_b32_e32 v37, v7
	s_add_i32 s8, s8, 16
	v_lshl_add_u64 v[32:33], v[32:33], 2, v[2:3]
	v_cmp_eq_u32_e32 vcc, 0, v11
	global_store_dword v[14:15], v34, off
	global_store_dword v[32:33], v35, off
	v_lshl_add_u64 v[14:15], v[6:7], 2, v[2:3]
	v_add_u32_e32 v6, 0x1c00, v4
	v_add_u32_e32 v40, 0x1c00, v5
	v_mov_b32_e32 v41, v7
	v_add_u32_e32 v12, 0x8000, v12
	v_lshl_add_u64 v[36:37], v[36:37], 2, v[2:3]
	v_add_u32_e32 v5, 0x2000, v5
	v_mov_b32_e32 v47, s8
	s_or_b64 s[6:7], vcc, s[6:7]
	v_add_u32_e32 v4, 0x2000, v4
	s_waitcnt lgkmcnt(1)
	global_store_dword v[14:15], v38, off
	global_store_dword v[36:37], v39, off
	v_lshl_add_u64 v[14:15], v[6:7], 2, v[2:3]
	v_lshl_add_u64 v[40:41], v[40:41], 2, v[2:3]
	s_waitcnt lgkmcnt(0)
	global_store_dword v[14:15], v42, off
	global_store_dword v[40:41], v43, off
	s_andn2_b64 exec, exec, s[6:7]
	s_cbranch_execnz .LBB2_275
; %bb.276:
	s_or_b64 exec, exec, s[6:7]
.LBB2_277:
	s_or_b64 exec, exec, s[4:5]
	v_and_b32_e32 v1, 7, v10
	v_cmp_ne_u32_e32 vcc, 0, v1
	s_and_saveexec_b64 s[4:5], vcc
	s_cbranch_execz .LBB2_280
; %bb.278:
	v_lshl_or_b32 v9, v47, 11, v9
	s_mov_b64 s[6:7], 0
	v_mov_b32_e32 v7, 0
.LBB2_279:                              ; =>This Inner Loop Header: Depth=1
	ds_read2st64_b32 v[10:11], v9 offset1:8
	v_add_u32_e32 v1, -1, v1
	v_mov_b32_e32 v6, v4
	v_cmp_eq_u32_e32 vcc, 0, v1
	v_add_u32_e32 v4, 0x400, v4
	v_add_u32_e32 v9, 0x1000, v9
	v_lshl_add_u64 v[12:13], v[6:7], 2, v[2:3]
	v_mov_b32_e32 v6, v5
	v_add_u32_e32 v5, 0x400, v5
	s_or_b64 s[6:7], vcc, s[6:7]
	v_lshl_add_u64 v[14:15], v[6:7], 2, v[2:3]
	s_waitcnt lgkmcnt(0)
	global_store_dword v[12:13], v10, off
	global_store_dword v[14:15], v11, off
	s_andn2_b64 exec, exec, s[6:7]
	s_cbranch_execnz .LBB2_279
.LBB2_280:
	s_or_b64 exec, exec, s[4:5]
	v_add_u32_e32 v1, 1, v8
	v_and_b32_e32 v5, 0xfffffe, v1
	v_cmp_ne_u32_e32 vcc, v1, v5
	v_lshl_or_b32 v4, v5, 9, v0
	s_orn2_b64 s[4:5], vcc, exec
.LBB2_281:
	s_or_b64 exec, exec, s[2:3]
	s_and_b64 exec, exec, s[4:5]
	s_cbranch_execz .LBB2_284
; %bb.282:
	v_lshlrev_b32_e32 v1, 2, v4
	s_mov_b64 s[2:3], 0
	v_mov_b32_e32 v5, 0
.LBB2_283:                              ; =>This Inner Loop Header: Depth=1
	ds_read_b32 v8, v1
	v_lshl_add_u64 v[6:7], v[4:5], 2, v[2:3]
	v_add_u32_e32 v4, 0x200, v4
	v_cmp_le_u32_e32 vcc, s16, v4
	v_add_u32_e32 v1, 0x800, v1
	s_or_b64 s[2:3], vcc, s[2:3]
	s_waitcnt lgkmcnt(0)
	global_store_dword v[6:7], v8, off
	s_andn2_b64 exec, exec, s[2:3]
	s_cbranch_execnz .LBB2_283
.LBB2_284:
	s_or_b64 exec, exec, s[0:1]
	v_cmp_eq_u32_e32 vcc, 0, v0
	s_and_b64 s[0:1], vcc, s[38:39]
	s_and_saveexec_b64 s[2:3], s[0:1]
	s_cbranch_execz .LBB2_194
.LBB2_285:
	s_add_u32 s0, s34, s16
	v_mov_b32_e32 v47, 0
	s_addc_u32 s1, s35, 0
	v_lshl_add_u64 v[0:1], s[0:1], 0, v[46:47]
	global_store_dwordx2 v47, v[0:1], s[36:37]
	s_endpgm
	.section	.rodata,"a",@progbits
	.p2align	6, 0x0
	.amdhsa_kernel _ZN7rocprim17ROCPRIM_400000_NS6detail17trampoline_kernelINS0_14default_configENS1_25partition_config_selectorILNS1_17partition_subalgoE9EiibEEZZNS1_14partition_implILS5_9ELb0ES3_jPKiN6thrust23THRUST_200600_302600_NS17counting_iteratorIiNSB_11use_defaultESD_SD_EEPNS0_10empty_typeENS0_5tupleIJPiSF_EEENSH_IJSI_SG_EEENS0_18inequality_wrapperIN6hipcub16HIPCUB_304000_NS8EqualityEEEPlJSF_EEE10hipError_tPvRmT3_T4_T5_T6_T7_T9_mT8_P12ihipStream_tbDpT10_ENKUlT_T0_E_clISt17integral_constantIbLb0EES1A_EEDaS15_S16_EUlS15_E_NS1_11comp_targetILNS1_3genE5ELNS1_11target_archE942ELNS1_3gpuE9ELNS1_3repE0EEENS1_30default_config_static_selectorELNS0_4arch9wavefront6targetE1EEEvT1_
		.amdhsa_group_segment_fixed_size 30728
		.amdhsa_private_segment_fixed_size 0
		.amdhsa_kernarg_size 112
		.amdhsa_user_sgpr_count 2
		.amdhsa_user_sgpr_dispatch_ptr 0
		.amdhsa_user_sgpr_queue_ptr 0
		.amdhsa_user_sgpr_kernarg_segment_ptr 1
		.amdhsa_user_sgpr_dispatch_id 0
		.amdhsa_user_sgpr_kernarg_preload_length 0
		.amdhsa_user_sgpr_kernarg_preload_offset 0
		.amdhsa_user_sgpr_private_segment_size 0
		.amdhsa_uses_dynamic_stack 0
		.amdhsa_enable_private_segment 0
		.amdhsa_system_sgpr_workgroup_id_x 1
		.amdhsa_system_sgpr_workgroup_id_y 0
		.amdhsa_system_sgpr_workgroup_id_z 0
		.amdhsa_system_sgpr_workgroup_info 0
		.amdhsa_system_vgpr_workitem_id 0
		.amdhsa_next_free_vgpr 100
		.amdhsa_next_free_sgpr 48
		.amdhsa_accum_offset 100
		.amdhsa_reserve_vcc 1
		.amdhsa_float_round_mode_32 0
		.amdhsa_float_round_mode_16_64 0
		.amdhsa_float_denorm_mode_32 3
		.amdhsa_float_denorm_mode_16_64 3
		.amdhsa_dx10_clamp 1
		.amdhsa_ieee_mode 1
		.amdhsa_fp16_overflow 0
		.amdhsa_tg_split 0
		.amdhsa_exception_fp_ieee_invalid_op 0
		.amdhsa_exception_fp_denorm_src 0
		.amdhsa_exception_fp_ieee_div_zero 0
		.amdhsa_exception_fp_ieee_overflow 0
		.amdhsa_exception_fp_ieee_underflow 0
		.amdhsa_exception_fp_ieee_inexact 0
		.amdhsa_exception_int_div_zero 0
	.end_amdhsa_kernel
	.section	.text._ZN7rocprim17ROCPRIM_400000_NS6detail17trampoline_kernelINS0_14default_configENS1_25partition_config_selectorILNS1_17partition_subalgoE9EiibEEZZNS1_14partition_implILS5_9ELb0ES3_jPKiN6thrust23THRUST_200600_302600_NS17counting_iteratorIiNSB_11use_defaultESD_SD_EEPNS0_10empty_typeENS0_5tupleIJPiSF_EEENSH_IJSI_SG_EEENS0_18inequality_wrapperIN6hipcub16HIPCUB_304000_NS8EqualityEEEPlJSF_EEE10hipError_tPvRmT3_T4_T5_T6_T7_T9_mT8_P12ihipStream_tbDpT10_ENKUlT_T0_E_clISt17integral_constantIbLb0EES1A_EEDaS15_S16_EUlS15_E_NS1_11comp_targetILNS1_3genE5ELNS1_11target_archE942ELNS1_3gpuE9ELNS1_3repE0EEENS1_30default_config_static_selectorELNS0_4arch9wavefront6targetE1EEEvT1_,"axG",@progbits,_ZN7rocprim17ROCPRIM_400000_NS6detail17trampoline_kernelINS0_14default_configENS1_25partition_config_selectorILNS1_17partition_subalgoE9EiibEEZZNS1_14partition_implILS5_9ELb0ES3_jPKiN6thrust23THRUST_200600_302600_NS17counting_iteratorIiNSB_11use_defaultESD_SD_EEPNS0_10empty_typeENS0_5tupleIJPiSF_EEENSH_IJSI_SG_EEENS0_18inequality_wrapperIN6hipcub16HIPCUB_304000_NS8EqualityEEEPlJSF_EEE10hipError_tPvRmT3_T4_T5_T6_T7_T9_mT8_P12ihipStream_tbDpT10_ENKUlT_T0_E_clISt17integral_constantIbLb0EES1A_EEDaS15_S16_EUlS15_E_NS1_11comp_targetILNS1_3genE5ELNS1_11target_archE942ELNS1_3gpuE9ELNS1_3repE0EEENS1_30default_config_static_selectorELNS0_4arch9wavefront6targetE1EEEvT1_,comdat
.Lfunc_end2:
	.size	_ZN7rocprim17ROCPRIM_400000_NS6detail17trampoline_kernelINS0_14default_configENS1_25partition_config_selectorILNS1_17partition_subalgoE9EiibEEZZNS1_14partition_implILS5_9ELb0ES3_jPKiN6thrust23THRUST_200600_302600_NS17counting_iteratorIiNSB_11use_defaultESD_SD_EEPNS0_10empty_typeENS0_5tupleIJPiSF_EEENSH_IJSI_SG_EEENS0_18inequality_wrapperIN6hipcub16HIPCUB_304000_NS8EqualityEEEPlJSF_EEE10hipError_tPvRmT3_T4_T5_T6_T7_T9_mT8_P12ihipStream_tbDpT10_ENKUlT_T0_E_clISt17integral_constantIbLb0EES1A_EEDaS15_S16_EUlS15_E_NS1_11comp_targetILNS1_3genE5ELNS1_11target_archE942ELNS1_3gpuE9ELNS1_3repE0EEENS1_30default_config_static_selectorELNS0_4arch9wavefront6targetE1EEEvT1_, .Lfunc_end2-_ZN7rocprim17ROCPRIM_400000_NS6detail17trampoline_kernelINS0_14default_configENS1_25partition_config_selectorILNS1_17partition_subalgoE9EiibEEZZNS1_14partition_implILS5_9ELb0ES3_jPKiN6thrust23THRUST_200600_302600_NS17counting_iteratorIiNSB_11use_defaultESD_SD_EEPNS0_10empty_typeENS0_5tupleIJPiSF_EEENSH_IJSI_SG_EEENS0_18inequality_wrapperIN6hipcub16HIPCUB_304000_NS8EqualityEEEPlJSF_EEE10hipError_tPvRmT3_T4_T5_T6_T7_T9_mT8_P12ihipStream_tbDpT10_ENKUlT_T0_E_clISt17integral_constantIbLb0EES1A_EEDaS15_S16_EUlS15_E_NS1_11comp_targetILNS1_3genE5ELNS1_11target_archE942ELNS1_3gpuE9ELNS1_3repE0EEENS1_30default_config_static_selectorELNS0_4arch9wavefront6targetE1EEEvT1_
                                        ; -- End function
	.section	.AMDGPU.csdata,"",@progbits
; Kernel info:
; codeLenInByte = 10720
; NumSgprs: 54
; NumVgprs: 100
; NumAgprs: 0
; TotalNumVgprs: 100
; ScratchSize: 0
; MemoryBound: 0
; FloatMode: 240
; IeeeMode: 1
; LDSByteSize: 30728 bytes/workgroup (compile time only)
; SGPRBlocks: 6
; VGPRBlocks: 12
; NumSGPRsForWavesPerEU: 54
; NumVGPRsForWavesPerEU: 100
; AccumOffset: 100
; Occupancy: 4
; WaveLimiterHint : 1
; COMPUTE_PGM_RSRC2:SCRATCH_EN: 0
; COMPUTE_PGM_RSRC2:USER_SGPR: 2
; COMPUTE_PGM_RSRC2:TRAP_HANDLER: 0
; COMPUTE_PGM_RSRC2:TGID_X_EN: 1
; COMPUTE_PGM_RSRC2:TGID_Y_EN: 0
; COMPUTE_PGM_RSRC2:TGID_Z_EN: 0
; COMPUTE_PGM_RSRC2:TIDIG_COMP_CNT: 0
; COMPUTE_PGM_RSRC3_GFX90A:ACCUM_OFFSET: 24
; COMPUTE_PGM_RSRC3_GFX90A:TG_SPLIT: 0
	.section	.text._ZN7rocprim17ROCPRIM_400000_NS6detail17trampoline_kernelINS0_14default_configENS1_25partition_config_selectorILNS1_17partition_subalgoE9EiibEEZZNS1_14partition_implILS5_9ELb0ES3_jPKiN6thrust23THRUST_200600_302600_NS17counting_iteratorIiNSB_11use_defaultESD_SD_EEPNS0_10empty_typeENS0_5tupleIJPiSF_EEENSH_IJSI_SG_EEENS0_18inequality_wrapperIN6hipcub16HIPCUB_304000_NS8EqualityEEEPlJSF_EEE10hipError_tPvRmT3_T4_T5_T6_T7_T9_mT8_P12ihipStream_tbDpT10_ENKUlT_T0_E_clISt17integral_constantIbLb0EES1A_EEDaS15_S16_EUlS15_E_NS1_11comp_targetILNS1_3genE4ELNS1_11target_archE910ELNS1_3gpuE8ELNS1_3repE0EEENS1_30default_config_static_selectorELNS0_4arch9wavefront6targetE1EEEvT1_,"axG",@progbits,_ZN7rocprim17ROCPRIM_400000_NS6detail17trampoline_kernelINS0_14default_configENS1_25partition_config_selectorILNS1_17partition_subalgoE9EiibEEZZNS1_14partition_implILS5_9ELb0ES3_jPKiN6thrust23THRUST_200600_302600_NS17counting_iteratorIiNSB_11use_defaultESD_SD_EEPNS0_10empty_typeENS0_5tupleIJPiSF_EEENSH_IJSI_SG_EEENS0_18inequality_wrapperIN6hipcub16HIPCUB_304000_NS8EqualityEEEPlJSF_EEE10hipError_tPvRmT3_T4_T5_T6_T7_T9_mT8_P12ihipStream_tbDpT10_ENKUlT_T0_E_clISt17integral_constantIbLb0EES1A_EEDaS15_S16_EUlS15_E_NS1_11comp_targetILNS1_3genE4ELNS1_11target_archE910ELNS1_3gpuE8ELNS1_3repE0EEENS1_30default_config_static_selectorELNS0_4arch9wavefront6targetE1EEEvT1_,comdat
	.protected	_ZN7rocprim17ROCPRIM_400000_NS6detail17trampoline_kernelINS0_14default_configENS1_25partition_config_selectorILNS1_17partition_subalgoE9EiibEEZZNS1_14partition_implILS5_9ELb0ES3_jPKiN6thrust23THRUST_200600_302600_NS17counting_iteratorIiNSB_11use_defaultESD_SD_EEPNS0_10empty_typeENS0_5tupleIJPiSF_EEENSH_IJSI_SG_EEENS0_18inequality_wrapperIN6hipcub16HIPCUB_304000_NS8EqualityEEEPlJSF_EEE10hipError_tPvRmT3_T4_T5_T6_T7_T9_mT8_P12ihipStream_tbDpT10_ENKUlT_T0_E_clISt17integral_constantIbLb0EES1A_EEDaS15_S16_EUlS15_E_NS1_11comp_targetILNS1_3genE4ELNS1_11target_archE910ELNS1_3gpuE8ELNS1_3repE0EEENS1_30default_config_static_selectorELNS0_4arch9wavefront6targetE1EEEvT1_ ; -- Begin function _ZN7rocprim17ROCPRIM_400000_NS6detail17trampoline_kernelINS0_14default_configENS1_25partition_config_selectorILNS1_17partition_subalgoE9EiibEEZZNS1_14partition_implILS5_9ELb0ES3_jPKiN6thrust23THRUST_200600_302600_NS17counting_iteratorIiNSB_11use_defaultESD_SD_EEPNS0_10empty_typeENS0_5tupleIJPiSF_EEENSH_IJSI_SG_EEENS0_18inequality_wrapperIN6hipcub16HIPCUB_304000_NS8EqualityEEEPlJSF_EEE10hipError_tPvRmT3_T4_T5_T6_T7_T9_mT8_P12ihipStream_tbDpT10_ENKUlT_T0_E_clISt17integral_constantIbLb0EES1A_EEDaS15_S16_EUlS15_E_NS1_11comp_targetILNS1_3genE4ELNS1_11target_archE910ELNS1_3gpuE8ELNS1_3repE0EEENS1_30default_config_static_selectorELNS0_4arch9wavefront6targetE1EEEvT1_
	.globl	_ZN7rocprim17ROCPRIM_400000_NS6detail17trampoline_kernelINS0_14default_configENS1_25partition_config_selectorILNS1_17partition_subalgoE9EiibEEZZNS1_14partition_implILS5_9ELb0ES3_jPKiN6thrust23THRUST_200600_302600_NS17counting_iteratorIiNSB_11use_defaultESD_SD_EEPNS0_10empty_typeENS0_5tupleIJPiSF_EEENSH_IJSI_SG_EEENS0_18inequality_wrapperIN6hipcub16HIPCUB_304000_NS8EqualityEEEPlJSF_EEE10hipError_tPvRmT3_T4_T5_T6_T7_T9_mT8_P12ihipStream_tbDpT10_ENKUlT_T0_E_clISt17integral_constantIbLb0EES1A_EEDaS15_S16_EUlS15_E_NS1_11comp_targetILNS1_3genE4ELNS1_11target_archE910ELNS1_3gpuE8ELNS1_3repE0EEENS1_30default_config_static_selectorELNS0_4arch9wavefront6targetE1EEEvT1_
	.p2align	8
	.type	_ZN7rocprim17ROCPRIM_400000_NS6detail17trampoline_kernelINS0_14default_configENS1_25partition_config_selectorILNS1_17partition_subalgoE9EiibEEZZNS1_14partition_implILS5_9ELb0ES3_jPKiN6thrust23THRUST_200600_302600_NS17counting_iteratorIiNSB_11use_defaultESD_SD_EEPNS0_10empty_typeENS0_5tupleIJPiSF_EEENSH_IJSI_SG_EEENS0_18inequality_wrapperIN6hipcub16HIPCUB_304000_NS8EqualityEEEPlJSF_EEE10hipError_tPvRmT3_T4_T5_T6_T7_T9_mT8_P12ihipStream_tbDpT10_ENKUlT_T0_E_clISt17integral_constantIbLb0EES1A_EEDaS15_S16_EUlS15_E_NS1_11comp_targetILNS1_3genE4ELNS1_11target_archE910ELNS1_3gpuE8ELNS1_3repE0EEENS1_30default_config_static_selectorELNS0_4arch9wavefront6targetE1EEEvT1_,@function
_ZN7rocprim17ROCPRIM_400000_NS6detail17trampoline_kernelINS0_14default_configENS1_25partition_config_selectorILNS1_17partition_subalgoE9EiibEEZZNS1_14partition_implILS5_9ELb0ES3_jPKiN6thrust23THRUST_200600_302600_NS17counting_iteratorIiNSB_11use_defaultESD_SD_EEPNS0_10empty_typeENS0_5tupleIJPiSF_EEENSH_IJSI_SG_EEENS0_18inequality_wrapperIN6hipcub16HIPCUB_304000_NS8EqualityEEEPlJSF_EEE10hipError_tPvRmT3_T4_T5_T6_T7_T9_mT8_P12ihipStream_tbDpT10_ENKUlT_T0_E_clISt17integral_constantIbLb0EES1A_EEDaS15_S16_EUlS15_E_NS1_11comp_targetILNS1_3genE4ELNS1_11target_archE910ELNS1_3gpuE8ELNS1_3repE0EEENS1_30default_config_static_selectorELNS0_4arch9wavefront6targetE1EEEvT1_: ; @_ZN7rocprim17ROCPRIM_400000_NS6detail17trampoline_kernelINS0_14default_configENS1_25partition_config_selectorILNS1_17partition_subalgoE9EiibEEZZNS1_14partition_implILS5_9ELb0ES3_jPKiN6thrust23THRUST_200600_302600_NS17counting_iteratorIiNSB_11use_defaultESD_SD_EEPNS0_10empty_typeENS0_5tupleIJPiSF_EEENSH_IJSI_SG_EEENS0_18inequality_wrapperIN6hipcub16HIPCUB_304000_NS8EqualityEEEPlJSF_EEE10hipError_tPvRmT3_T4_T5_T6_T7_T9_mT8_P12ihipStream_tbDpT10_ENKUlT_T0_E_clISt17integral_constantIbLb0EES1A_EEDaS15_S16_EUlS15_E_NS1_11comp_targetILNS1_3genE4ELNS1_11target_archE910ELNS1_3gpuE8ELNS1_3repE0EEENS1_30default_config_static_selectorELNS0_4arch9wavefront6targetE1EEEvT1_
; %bb.0:
	.section	.rodata,"a",@progbits
	.p2align	6, 0x0
	.amdhsa_kernel _ZN7rocprim17ROCPRIM_400000_NS6detail17trampoline_kernelINS0_14default_configENS1_25partition_config_selectorILNS1_17partition_subalgoE9EiibEEZZNS1_14partition_implILS5_9ELb0ES3_jPKiN6thrust23THRUST_200600_302600_NS17counting_iteratorIiNSB_11use_defaultESD_SD_EEPNS0_10empty_typeENS0_5tupleIJPiSF_EEENSH_IJSI_SG_EEENS0_18inequality_wrapperIN6hipcub16HIPCUB_304000_NS8EqualityEEEPlJSF_EEE10hipError_tPvRmT3_T4_T5_T6_T7_T9_mT8_P12ihipStream_tbDpT10_ENKUlT_T0_E_clISt17integral_constantIbLb0EES1A_EEDaS15_S16_EUlS15_E_NS1_11comp_targetILNS1_3genE4ELNS1_11target_archE910ELNS1_3gpuE8ELNS1_3repE0EEENS1_30default_config_static_selectorELNS0_4arch9wavefront6targetE1EEEvT1_
		.amdhsa_group_segment_fixed_size 0
		.amdhsa_private_segment_fixed_size 0
		.amdhsa_kernarg_size 112
		.amdhsa_user_sgpr_count 2
		.amdhsa_user_sgpr_dispatch_ptr 0
		.amdhsa_user_sgpr_queue_ptr 0
		.amdhsa_user_sgpr_kernarg_segment_ptr 1
		.amdhsa_user_sgpr_dispatch_id 0
		.amdhsa_user_sgpr_kernarg_preload_length 0
		.amdhsa_user_sgpr_kernarg_preload_offset 0
		.amdhsa_user_sgpr_private_segment_size 0
		.amdhsa_uses_dynamic_stack 0
		.amdhsa_enable_private_segment 0
		.amdhsa_system_sgpr_workgroup_id_x 1
		.amdhsa_system_sgpr_workgroup_id_y 0
		.amdhsa_system_sgpr_workgroup_id_z 0
		.amdhsa_system_sgpr_workgroup_info 0
		.amdhsa_system_vgpr_workitem_id 0
		.amdhsa_next_free_vgpr 1
		.amdhsa_next_free_sgpr 0
		.amdhsa_accum_offset 4
		.amdhsa_reserve_vcc 0
		.amdhsa_float_round_mode_32 0
		.amdhsa_float_round_mode_16_64 0
		.amdhsa_float_denorm_mode_32 3
		.amdhsa_float_denorm_mode_16_64 3
		.amdhsa_dx10_clamp 1
		.amdhsa_ieee_mode 1
		.amdhsa_fp16_overflow 0
		.amdhsa_tg_split 0
		.amdhsa_exception_fp_ieee_invalid_op 0
		.amdhsa_exception_fp_denorm_src 0
		.amdhsa_exception_fp_ieee_div_zero 0
		.amdhsa_exception_fp_ieee_overflow 0
		.amdhsa_exception_fp_ieee_underflow 0
		.amdhsa_exception_fp_ieee_inexact 0
		.amdhsa_exception_int_div_zero 0
	.end_amdhsa_kernel
	.section	.text._ZN7rocprim17ROCPRIM_400000_NS6detail17trampoline_kernelINS0_14default_configENS1_25partition_config_selectorILNS1_17partition_subalgoE9EiibEEZZNS1_14partition_implILS5_9ELb0ES3_jPKiN6thrust23THRUST_200600_302600_NS17counting_iteratorIiNSB_11use_defaultESD_SD_EEPNS0_10empty_typeENS0_5tupleIJPiSF_EEENSH_IJSI_SG_EEENS0_18inequality_wrapperIN6hipcub16HIPCUB_304000_NS8EqualityEEEPlJSF_EEE10hipError_tPvRmT3_T4_T5_T6_T7_T9_mT8_P12ihipStream_tbDpT10_ENKUlT_T0_E_clISt17integral_constantIbLb0EES1A_EEDaS15_S16_EUlS15_E_NS1_11comp_targetILNS1_3genE4ELNS1_11target_archE910ELNS1_3gpuE8ELNS1_3repE0EEENS1_30default_config_static_selectorELNS0_4arch9wavefront6targetE1EEEvT1_,"axG",@progbits,_ZN7rocprim17ROCPRIM_400000_NS6detail17trampoline_kernelINS0_14default_configENS1_25partition_config_selectorILNS1_17partition_subalgoE9EiibEEZZNS1_14partition_implILS5_9ELb0ES3_jPKiN6thrust23THRUST_200600_302600_NS17counting_iteratorIiNSB_11use_defaultESD_SD_EEPNS0_10empty_typeENS0_5tupleIJPiSF_EEENSH_IJSI_SG_EEENS0_18inequality_wrapperIN6hipcub16HIPCUB_304000_NS8EqualityEEEPlJSF_EEE10hipError_tPvRmT3_T4_T5_T6_T7_T9_mT8_P12ihipStream_tbDpT10_ENKUlT_T0_E_clISt17integral_constantIbLb0EES1A_EEDaS15_S16_EUlS15_E_NS1_11comp_targetILNS1_3genE4ELNS1_11target_archE910ELNS1_3gpuE8ELNS1_3repE0EEENS1_30default_config_static_selectorELNS0_4arch9wavefront6targetE1EEEvT1_,comdat
.Lfunc_end3:
	.size	_ZN7rocprim17ROCPRIM_400000_NS6detail17trampoline_kernelINS0_14default_configENS1_25partition_config_selectorILNS1_17partition_subalgoE9EiibEEZZNS1_14partition_implILS5_9ELb0ES3_jPKiN6thrust23THRUST_200600_302600_NS17counting_iteratorIiNSB_11use_defaultESD_SD_EEPNS0_10empty_typeENS0_5tupleIJPiSF_EEENSH_IJSI_SG_EEENS0_18inequality_wrapperIN6hipcub16HIPCUB_304000_NS8EqualityEEEPlJSF_EEE10hipError_tPvRmT3_T4_T5_T6_T7_T9_mT8_P12ihipStream_tbDpT10_ENKUlT_T0_E_clISt17integral_constantIbLb0EES1A_EEDaS15_S16_EUlS15_E_NS1_11comp_targetILNS1_3genE4ELNS1_11target_archE910ELNS1_3gpuE8ELNS1_3repE0EEENS1_30default_config_static_selectorELNS0_4arch9wavefront6targetE1EEEvT1_, .Lfunc_end3-_ZN7rocprim17ROCPRIM_400000_NS6detail17trampoline_kernelINS0_14default_configENS1_25partition_config_selectorILNS1_17partition_subalgoE9EiibEEZZNS1_14partition_implILS5_9ELb0ES3_jPKiN6thrust23THRUST_200600_302600_NS17counting_iteratorIiNSB_11use_defaultESD_SD_EEPNS0_10empty_typeENS0_5tupleIJPiSF_EEENSH_IJSI_SG_EEENS0_18inequality_wrapperIN6hipcub16HIPCUB_304000_NS8EqualityEEEPlJSF_EEE10hipError_tPvRmT3_T4_T5_T6_T7_T9_mT8_P12ihipStream_tbDpT10_ENKUlT_T0_E_clISt17integral_constantIbLb0EES1A_EEDaS15_S16_EUlS15_E_NS1_11comp_targetILNS1_3genE4ELNS1_11target_archE910ELNS1_3gpuE8ELNS1_3repE0EEENS1_30default_config_static_selectorELNS0_4arch9wavefront6targetE1EEEvT1_
                                        ; -- End function
	.section	.AMDGPU.csdata,"",@progbits
; Kernel info:
; codeLenInByte = 0
; NumSgprs: 6
; NumVgprs: 0
; NumAgprs: 0
; TotalNumVgprs: 0
; ScratchSize: 0
; MemoryBound: 0
; FloatMode: 240
; IeeeMode: 1
; LDSByteSize: 0 bytes/workgroup (compile time only)
; SGPRBlocks: 0
; VGPRBlocks: 0
; NumSGPRsForWavesPerEU: 6
; NumVGPRsForWavesPerEU: 1
; AccumOffset: 4
; Occupancy: 8
; WaveLimiterHint : 0
; COMPUTE_PGM_RSRC2:SCRATCH_EN: 0
; COMPUTE_PGM_RSRC2:USER_SGPR: 2
; COMPUTE_PGM_RSRC2:TRAP_HANDLER: 0
; COMPUTE_PGM_RSRC2:TGID_X_EN: 1
; COMPUTE_PGM_RSRC2:TGID_Y_EN: 0
; COMPUTE_PGM_RSRC2:TGID_Z_EN: 0
; COMPUTE_PGM_RSRC2:TIDIG_COMP_CNT: 0
; COMPUTE_PGM_RSRC3_GFX90A:ACCUM_OFFSET: 0
; COMPUTE_PGM_RSRC3_GFX90A:TG_SPLIT: 0
	.section	.text._ZN7rocprim17ROCPRIM_400000_NS6detail17trampoline_kernelINS0_14default_configENS1_25partition_config_selectorILNS1_17partition_subalgoE9EiibEEZZNS1_14partition_implILS5_9ELb0ES3_jPKiN6thrust23THRUST_200600_302600_NS17counting_iteratorIiNSB_11use_defaultESD_SD_EEPNS0_10empty_typeENS0_5tupleIJPiSF_EEENSH_IJSI_SG_EEENS0_18inequality_wrapperIN6hipcub16HIPCUB_304000_NS8EqualityEEEPlJSF_EEE10hipError_tPvRmT3_T4_T5_T6_T7_T9_mT8_P12ihipStream_tbDpT10_ENKUlT_T0_E_clISt17integral_constantIbLb0EES1A_EEDaS15_S16_EUlS15_E_NS1_11comp_targetILNS1_3genE3ELNS1_11target_archE908ELNS1_3gpuE7ELNS1_3repE0EEENS1_30default_config_static_selectorELNS0_4arch9wavefront6targetE1EEEvT1_,"axG",@progbits,_ZN7rocprim17ROCPRIM_400000_NS6detail17trampoline_kernelINS0_14default_configENS1_25partition_config_selectorILNS1_17partition_subalgoE9EiibEEZZNS1_14partition_implILS5_9ELb0ES3_jPKiN6thrust23THRUST_200600_302600_NS17counting_iteratorIiNSB_11use_defaultESD_SD_EEPNS0_10empty_typeENS0_5tupleIJPiSF_EEENSH_IJSI_SG_EEENS0_18inequality_wrapperIN6hipcub16HIPCUB_304000_NS8EqualityEEEPlJSF_EEE10hipError_tPvRmT3_T4_T5_T6_T7_T9_mT8_P12ihipStream_tbDpT10_ENKUlT_T0_E_clISt17integral_constantIbLb0EES1A_EEDaS15_S16_EUlS15_E_NS1_11comp_targetILNS1_3genE3ELNS1_11target_archE908ELNS1_3gpuE7ELNS1_3repE0EEENS1_30default_config_static_selectorELNS0_4arch9wavefront6targetE1EEEvT1_,comdat
	.protected	_ZN7rocprim17ROCPRIM_400000_NS6detail17trampoline_kernelINS0_14default_configENS1_25partition_config_selectorILNS1_17partition_subalgoE9EiibEEZZNS1_14partition_implILS5_9ELb0ES3_jPKiN6thrust23THRUST_200600_302600_NS17counting_iteratorIiNSB_11use_defaultESD_SD_EEPNS0_10empty_typeENS0_5tupleIJPiSF_EEENSH_IJSI_SG_EEENS0_18inequality_wrapperIN6hipcub16HIPCUB_304000_NS8EqualityEEEPlJSF_EEE10hipError_tPvRmT3_T4_T5_T6_T7_T9_mT8_P12ihipStream_tbDpT10_ENKUlT_T0_E_clISt17integral_constantIbLb0EES1A_EEDaS15_S16_EUlS15_E_NS1_11comp_targetILNS1_3genE3ELNS1_11target_archE908ELNS1_3gpuE7ELNS1_3repE0EEENS1_30default_config_static_selectorELNS0_4arch9wavefront6targetE1EEEvT1_ ; -- Begin function _ZN7rocprim17ROCPRIM_400000_NS6detail17trampoline_kernelINS0_14default_configENS1_25partition_config_selectorILNS1_17partition_subalgoE9EiibEEZZNS1_14partition_implILS5_9ELb0ES3_jPKiN6thrust23THRUST_200600_302600_NS17counting_iteratorIiNSB_11use_defaultESD_SD_EEPNS0_10empty_typeENS0_5tupleIJPiSF_EEENSH_IJSI_SG_EEENS0_18inequality_wrapperIN6hipcub16HIPCUB_304000_NS8EqualityEEEPlJSF_EEE10hipError_tPvRmT3_T4_T5_T6_T7_T9_mT8_P12ihipStream_tbDpT10_ENKUlT_T0_E_clISt17integral_constantIbLb0EES1A_EEDaS15_S16_EUlS15_E_NS1_11comp_targetILNS1_3genE3ELNS1_11target_archE908ELNS1_3gpuE7ELNS1_3repE0EEENS1_30default_config_static_selectorELNS0_4arch9wavefront6targetE1EEEvT1_
	.globl	_ZN7rocprim17ROCPRIM_400000_NS6detail17trampoline_kernelINS0_14default_configENS1_25partition_config_selectorILNS1_17partition_subalgoE9EiibEEZZNS1_14partition_implILS5_9ELb0ES3_jPKiN6thrust23THRUST_200600_302600_NS17counting_iteratorIiNSB_11use_defaultESD_SD_EEPNS0_10empty_typeENS0_5tupleIJPiSF_EEENSH_IJSI_SG_EEENS0_18inequality_wrapperIN6hipcub16HIPCUB_304000_NS8EqualityEEEPlJSF_EEE10hipError_tPvRmT3_T4_T5_T6_T7_T9_mT8_P12ihipStream_tbDpT10_ENKUlT_T0_E_clISt17integral_constantIbLb0EES1A_EEDaS15_S16_EUlS15_E_NS1_11comp_targetILNS1_3genE3ELNS1_11target_archE908ELNS1_3gpuE7ELNS1_3repE0EEENS1_30default_config_static_selectorELNS0_4arch9wavefront6targetE1EEEvT1_
	.p2align	8
	.type	_ZN7rocprim17ROCPRIM_400000_NS6detail17trampoline_kernelINS0_14default_configENS1_25partition_config_selectorILNS1_17partition_subalgoE9EiibEEZZNS1_14partition_implILS5_9ELb0ES3_jPKiN6thrust23THRUST_200600_302600_NS17counting_iteratorIiNSB_11use_defaultESD_SD_EEPNS0_10empty_typeENS0_5tupleIJPiSF_EEENSH_IJSI_SG_EEENS0_18inequality_wrapperIN6hipcub16HIPCUB_304000_NS8EqualityEEEPlJSF_EEE10hipError_tPvRmT3_T4_T5_T6_T7_T9_mT8_P12ihipStream_tbDpT10_ENKUlT_T0_E_clISt17integral_constantIbLb0EES1A_EEDaS15_S16_EUlS15_E_NS1_11comp_targetILNS1_3genE3ELNS1_11target_archE908ELNS1_3gpuE7ELNS1_3repE0EEENS1_30default_config_static_selectorELNS0_4arch9wavefront6targetE1EEEvT1_,@function
_ZN7rocprim17ROCPRIM_400000_NS6detail17trampoline_kernelINS0_14default_configENS1_25partition_config_selectorILNS1_17partition_subalgoE9EiibEEZZNS1_14partition_implILS5_9ELb0ES3_jPKiN6thrust23THRUST_200600_302600_NS17counting_iteratorIiNSB_11use_defaultESD_SD_EEPNS0_10empty_typeENS0_5tupleIJPiSF_EEENSH_IJSI_SG_EEENS0_18inequality_wrapperIN6hipcub16HIPCUB_304000_NS8EqualityEEEPlJSF_EEE10hipError_tPvRmT3_T4_T5_T6_T7_T9_mT8_P12ihipStream_tbDpT10_ENKUlT_T0_E_clISt17integral_constantIbLb0EES1A_EEDaS15_S16_EUlS15_E_NS1_11comp_targetILNS1_3genE3ELNS1_11target_archE908ELNS1_3gpuE7ELNS1_3repE0EEENS1_30default_config_static_selectorELNS0_4arch9wavefront6targetE1EEEvT1_: ; @_ZN7rocprim17ROCPRIM_400000_NS6detail17trampoline_kernelINS0_14default_configENS1_25partition_config_selectorILNS1_17partition_subalgoE9EiibEEZZNS1_14partition_implILS5_9ELb0ES3_jPKiN6thrust23THRUST_200600_302600_NS17counting_iteratorIiNSB_11use_defaultESD_SD_EEPNS0_10empty_typeENS0_5tupleIJPiSF_EEENSH_IJSI_SG_EEENS0_18inequality_wrapperIN6hipcub16HIPCUB_304000_NS8EqualityEEEPlJSF_EEE10hipError_tPvRmT3_T4_T5_T6_T7_T9_mT8_P12ihipStream_tbDpT10_ENKUlT_T0_E_clISt17integral_constantIbLb0EES1A_EEDaS15_S16_EUlS15_E_NS1_11comp_targetILNS1_3genE3ELNS1_11target_archE908ELNS1_3gpuE7ELNS1_3repE0EEENS1_30default_config_static_selectorELNS0_4arch9wavefront6targetE1EEEvT1_
; %bb.0:
	.section	.rodata,"a",@progbits
	.p2align	6, 0x0
	.amdhsa_kernel _ZN7rocprim17ROCPRIM_400000_NS6detail17trampoline_kernelINS0_14default_configENS1_25partition_config_selectorILNS1_17partition_subalgoE9EiibEEZZNS1_14partition_implILS5_9ELb0ES3_jPKiN6thrust23THRUST_200600_302600_NS17counting_iteratorIiNSB_11use_defaultESD_SD_EEPNS0_10empty_typeENS0_5tupleIJPiSF_EEENSH_IJSI_SG_EEENS0_18inequality_wrapperIN6hipcub16HIPCUB_304000_NS8EqualityEEEPlJSF_EEE10hipError_tPvRmT3_T4_T5_T6_T7_T9_mT8_P12ihipStream_tbDpT10_ENKUlT_T0_E_clISt17integral_constantIbLb0EES1A_EEDaS15_S16_EUlS15_E_NS1_11comp_targetILNS1_3genE3ELNS1_11target_archE908ELNS1_3gpuE7ELNS1_3repE0EEENS1_30default_config_static_selectorELNS0_4arch9wavefront6targetE1EEEvT1_
		.amdhsa_group_segment_fixed_size 0
		.amdhsa_private_segment_fixed_size 0
		.amdhsa_kernarg_size 112
		.amdhsa_user_sgpr_count 2
		.amdhsa_user_sgpr_dispatch_ptr 0
		.amdhsa_user_sgpr_queue_ptr 0
		.amdhsa_user_sgpr_kernarg_segment_ptr 1
		.amdhsa_user_sgpr_dispatch_id 0
		.amdhsa_user_sgpr_kernarg_preload_length 0
		.amdhsa_user_sgpr_kernarg_preload_offset 0
		.amdhsa_user_sgpr_private_segment_size 0
		.amdhsa_uses_dynamic_stack 0
		.amdhsa_enable_private_segment 0
		.amdhsa_system_sgpr_workgroup_id_x 1
		.amdhsa_system_sgpr_workgroup_id_y 0
		.amdhsa_system_sgpr_workgroup_id_z 0
		.amdhsa_system_sgpr_workgroup_info 0
		.amdhsa_system_vgpr_workitem_id 0
		.amdhsa_next_free_vgpr 1
		.amdhsa_next_free_sgpr 0
		.amdhsa_accum_offset 4
		.amdhsa_reserve_vcc 0
		.amdhsa_float_round_mode_32 0
		.amdhsa_float_round_mode_16_64 0
		.amdhsa_float_denorm_mode_32 3
		.amdhsa_float_denorm_mode_16_64 3
		.amdhsa_dx10_clamp 1
		.amdhsa_ieee_mode 1
		.amdhsa_fp16_overflow 0
		.amdhsa_tg_split 0
		.amdhsa_exception_fp_ieee_invalid_op 0
		.amdhsa_exception_fp_denorm_src 0
		.amdhsa_exception_fp_ieee_div_zero 0
		.amdhsa_exception_fp_ieee_overflow 0
		.amdhsa_exception_fp_ieee_underflow 0
		.amdhsa_exception_fp_ieee_inexact 0
		.amdhsa_exception_int_div_zero 0
	.end_amdhsa_kernel
	.section	.text._ZN7rocprim17ROCPRIM_400000_NS6detail17trampoline_kernelINS0_14default_configENS1_25partition_config_selectorILNS1_17partition_subalgoE9EiibEEZZNS1_14partition_implILS5_9ELb0ES3_jPKiN6thrust23THRUST_200600_302600_NS17counting_iteratorIiNSB_11use_defaultESD_SD_EEPNS0_10empty_typeENS0_5tupleIJPiSF_EEENSH_IJSI_SG_EEENS0_18inequality_wrapperIN6hipcub16HIPCUB_304000_NS8EqualityEEEPlJSF_EEE10hipError_tPvRmT3_T4_T5_T6_T7_T9_mT8_P12ihipStream_tbDpT10_ENKUlT_T0_E_clISt17integral_constantIbLb0EES1A_EEDaS15_S16_EUlS15_E_NS1_11comp_targetILNS1_3genE3ELNS1_11target_archE908ELNS1_3gpuE7ELNS1_3repE0EEENS1_30default_config_static_selectorELNS0_4arch9wavefront6targetE1EEEvT1_,"axG",@progbits,_ZN7rocprim17ROCPRIM_400000_NS6detail17trampoline_kernelINS0_14default_configENS1_25partition_config_selectorILNS1_17partition_subalgoE9EiibEEZZNS1_14partition_implILS5_9ELb0ES3_jPKiN6thrust23THRUST_200600_302600_NS17counting_iteratorIiNSB_11use_defaultESD_SD_EEPNS0_10empty_typeENS0_5tupleIJPiSF_EEENSH_IJSI_SG_EEENS0_18inequality_wrapperIN6hipcub16HIPCUB_304000_NS8EqualityEEEPlJSF_EEE10hipError_tPvRmT3_T4_T5_T6_T7_T9_mT8_P12ihipStream_tbDpT10_ENKUlT_T0_E_clISt17integral_constantIbLb0EES1A_EEDaS15_S16_EUlS15_E_NS1_11comp_targetILNS1_3genE3ELNS1_11target_archE908ELNS1_3gpuE7ELNS1_3repE0EEENS1_30default_config_static_selectorELNS0_4arch9wavefront6targetE1EEEvT1_,comdat
.Lfunc_end4:
	.size	_ZN7rocprim17ROCPRIM_400000_NS6detail17trampoline_kernelINS0_14default_configENS1_25partition_config_selectorILNS1_17partition_subalgoE9EiibEEZZNS1_14partition_implILS5_9ELb0ES3_jPKiN6thrust23THRUST_200600_302600_NS17counting_iteratorIiNSB_11use_defaultESD_SD_EEPNS0_10empty_typeENS0_5tupleIJPiSF_EEENSH_IJSI_SG_EEENS0_18inequality_wrapperIN6hipcub16HIPCUB_304000_NS8EqualityEEEPlJSF_EEE10hipError_tPvRmT3_T4_T5_T6_T7_T9_mT8_P12ihipStream_tbDpT10_ENKUlT_T0_E_clISt17integral_constantIbLb0EES1A_EEDaS15_S16_EUlS15_E_NS1_11comp_targetILNS1_3genE3ELNS1_11target_archE908ELNS1_3gpuE7ELNS1_3repE0EEENS1_30default_config_static_selectorELNS0_4arch9wavefront6targetE1EEEvT1_, .Lfunc_end4-_ZN7rocprim17ROCPRIM_400000_NS6detail17trampoline_kernelINS0_14default_configENS1_25partition_config_selectorILNS1_17partition_subalgoE9EiibEEZZNS1_14partition_implILS5_9ELb0ES3_jPKiN6thrust23THRUST_200600_302600_NS17counting_iteratorIiNSB_11use_defaultESD_SD_EEPNS0_10empty_typeENS0_5tupleIJPiSF_EEENSH_IJSI_SG_EEENS0_18inequality_wrapperIN6hipcub16HIPCUB_304000_NS8EqualityEEEPlJSF_EEE10hipError_tPvRmT3_T4_T5_T6_T7_T9_mT8_P12ihipStream_tbDpT10_ENKUlT_T0_E_clISt17integral_constantIbLb0EES1A_EEDaS15_S16_EUlS15_E_NS1_11comp_targetILNS1_3genE3ELNS1_11target_archE908ELNS1_3gpuE7ELNS1_3repE0EEENS1_30default_config_static_selectorELNS0_4arch9wavefront6targetE1EEEvT1_
                                        ; -- End function
	.section	.AMDGPU.csdata,"",@progbits
; Kernel info:
; codeLenInByte = 0
; NumSgprs: 6
; NumVgprs: 0
; NumAgprs: 0
; TotalNumVgprs: 0
; ScratchSize: 0
; MemoryBound: 0
; FloatMode: 240
; IeeeMode: 1
; LDSByteSize: 0 bytes/workgroup (compile time only)
; SGPRBlocks: 0
; VGPRBlocks: 0
; NumSGPRsForWavesPerEU: 6
; NumVGPRsForWavesPerEU: 1
; AccumOffset: 4
; Occupancy: 8
; WaveLimiterHint : 0
; COMPUTE_PGM_RSRC2:SCRATCH_EN: 0
; COMPUTE_PGM_RSRC2:USER_SGPR: 2
; COMPUTE_PGM_RSRC2:TRAP_HANDLER: 0
; COMPUTE_PGM_RSRC2:TGID_X_EN: 1
; COMPUTE_PGM_RSRC2:TGID_Y_EN: 0
; COMPUTE_PGM_RSRC2:TGID_Z_EN: 0
; COMPUTE_PGM_RSRC2:TIDIG_COMP_CNT: 0
; COMPUTE_PGM_RSRC3_GFX90A:ACCUM_OFFSET: 0
; COMPUTE_PGM_RSRC3_GFX90A:TG_SPLIT: 0
	.section	.text._ZN7rocprim17ROCPRIM_400000_NS6detail17trampoline_kernelINS0_14default_configENS1_25partition_config_selectorILNS1_17partition_subalgoE9EiibEEZZNS1_14partition_implILS5_9ELb0ES3_jPKiN6thrust23THRUST_200600_302600_NS17counting_iteratorIiNSB_11use_defaultESD_SD_EEPNS0_10empty_typeENS0_5tupleIJPiSF_EEENSH_IJSI_SG_EEENS0_18inequality_wrapperIN6hipcub16HIPCUB_304000_NS8EqualityEEEPlJSF_EEE10hipError_tPvRmT3_T4_T5_T6_T7_T9_mT8_P12ihipStream_tbDpT10_ENKUlT_T0_E_clISt17integral_constantIbLb0EES1A_EEDaS15_S16_EUlS15_E_NS1_11comp_targetILNS1_3genE2ELNS1_11target_archE906ELNS1_3gpuE6ELNS1_3repE0EEENS1_30default_config_static_selectorELNS0_4arch9wavefront6targetE1EEEvT1_,"axG",@progbits,_ZN7rocprim17ROCPRIM_400000_NS6detail17trampoline_kernelINS0_14default_configENS1_25partition_config_selectorILNS1_17partition_subalgoE9EiibEEZZNS1_14partition_implILS5_9ELb0ES3_jPKiN6thrust23THRUST_200600_302600_NS17counting_iteratorIiNSB_11use_defaultESD_SD_EEPNS0_10empty_typeENS0_5tupleIJPiSF_EEENSH_IJSI_SG_EEENS0_18inequality_wrapperIN6hipcub16HIPCUB_304000_NS8EqualityEEEPlJSF_EEE10hipError_tPvRmT3_T4_T5_T6_T7_T9_mT8_P12ihipStream_tbDpT10_ENKUlT_T0_E_clISt17integral_constantIbLb0EES1A_EEDaS15_S16_EUlS15_E_NS1_11comp_targetILNS1_3genE2ELNS1_11target_archE906ELNS1_3gpuE6ELNS1_3repE0EEENS1_30default_config_static_selectorELNS0_4arch9wavefront6targetE1EEEvT1_,comdat
	.protected	_ZN7rocprim17ROCPRIM_400000_NS6detail17trampoline_kernelINS0_14default_configENS1_25partition_config_selectorILNS1_17partition_subalgoE9EiibEEZZNS1_14partition_implILS5_9ELb0ES3_jPKiN6thrust23THRUST_200600_302600_NS17counting_iteratorIiNSB_11use_defaultESD_SD_EEPNS0_10empty_typeENS0_5tupleIJPiSF_EEENSH_IJSI_SG_EEENS0_18inequality_wrapperIN6hipcub16HIPCUB_304000_NS8EqualityEEEPlJSF_EEE10hipError_tPvRmT3_T4_T5_T6_T7_T9_mT8_P12ihipStream_tbDpT10_ENKUlT_T0_E_clISt17integral_constantIbLb0EES1A_EEDaS15_S16_EUlS15_E_NS1_11comp_targetILNS1_3genE2ELNS1_11target_archE906ELNS1_3gpuE6ELNS1_3repE0EEENS1_30default_config_static_selectorELNS0_4arch9wavefront6targetE1EEEvT1_ ; -- Begin function _ZN7rocprim17ROCPRIM_400000_NS6detail17trampoline_kernelINS0_14default_configENS1_25partition_config_selectorILNS1_17partition_subalgoE9EiibEEZZNS1_14partition_implILS5_9ELb0ES3_jPKiN6thrust23THRUST_200600_302600_NS17counting_iteratorIiNSB_11use_defaultESD_SD_EEPNS0_10empty_typeENS0_5tupleIJPiSF_EEENSH_IJSI_SG_EEENS0_18inequality_wrapperIN6hipcub16HIPCUB_304000_NS8EqualityEEEPlJSF_EEE10hipError_tPvRmT3_T4_T5_T6_T7_T9_mT8_P12ihipStream_tbDpT10_ENKUlT_T0_E_clISt17integral_constantIbLb0EES1A_EEDaS15_S16_EUlS15_E_NS1_11comp_targetILNS1_3genE2ELNS1_11target_archE906ELNS1_3gpuE6ELNS1_3repE0EEENS1_30default_config_static_selectorELNS0_4arch9wavefront6targetE1EEEvT1_
	.globl	_ZN7rocprim17ROCPRIM_400000_NS6detail17trampoline_kernelINS0_14default_configENS1_25partition_config_selectorILNS1_17partition_subalgoE9EiibEEZZNS1_14partition_implILS5_9ELb0ES3_jPKiN6thrust23THRUST_200600_302600_NS17counting_iteratorIiNSB_11use_defaultESD_SD_EEPNS0_10empty_typeENS0_5tupleIJPiSF_EEENSH_IJSI_SG_EEENS0_18inequality_wrapperIN6hipcub16HIPCUB_304000_NS8EqualityEEEPlJSF_EEE10hipError_tPvRmT3_T4_T5_T6_T7_T9_mT8_P12ihipStream_tbDpT10_ENKUlT_T0_E_clISt17integral_constantIbLb0EES1A_EEDaS15_S16_EUlS15_E_NS1_11comp_targetILNS1_3genE2ELNS1_11target_archE906ELNS1_3gpuE6ELNS1_3repE0EEENS1_30default_config_static_selectorELNS0_4arch9wavefront6targetE1EEEvT1_
	.p2align	8
	.type	_ZN7rocprim17ROCPRIM_400000_NS6detail17trampoline_kernelINS0_14default_configENS1_25partition_config_selectorILNS1_17partition_subalgoE9EiibEEZZNS1_14partition_implILS5_9ELb0ES3_jPKiN6thrust23THRUST_200600_302600_NS17counting_iteratorIiNSB_11use_defaultESD_SD_EEPNS0_10empty_typeENS0_5tupleIJPiSF_EEENSH_IJSI_SG_EEENS0_18inequality_wrapperIN6hipcub16HIPCUB_304000_NS8EqualityEEEPlJSF_EEE10hipError_tPvRmT3_T4_T5_T6_T7_T9_mT8_P12ihipStream_tbDpT10_ENKUlT_T0_E_clISt17integral_constantIbLb0EES1A_EEDaS15_S16_EUlS15_E_NS1_11comp_targetILNS1_3genE2ELNS1_11target_archE906ELNS1_3gpuE6ELNS1_3repE0EEENS1_30default_config_static_selectorELNS0_4arch9wavefront6targetE1EEEvT1_,@function
_ZN7rocprim17ROCPRIM_400000_NS6detail17trampoline_kernelINS0_14default_configENS1_25partition_config_selectorILNS1_17partition_subalgoE9EiibEEZZNS1_14partition_implILS5_9ELb0ES3_jPKiN6thrust23THRUST_200600_302600_NS17counting_iteratorIiNSB_11use_defaultESD_SD_EEPNS0_10empty_typeENS0_5tupleIJPiSF_EEENSH_IJSI_SG_EEENS0_18inequality_wrapperIN6hipcub16HIPCUB_304000_NS8EqualityEEEPlJSF_EEE10hipError_tPvRmT3_T4_T5_T6_T7_T9_mT8_P12ihipStream_tbDpT10_ENKUlT_T0_E_clISt17integral_constantIbLb0EES1A_EEDaS15_S16_EUlS15_E_NS1_11comp_targetILNS1_3genE2ELNS1_11target_archE906ELNS1_3gpuE6ELNS1_3repE0EEENS1_30default_config_static_selectorELNS0_4arch9wavefront6targetE1EEEvT1_: ; @_ZN7rocprim17ROCPRIM_400000_NS6detail17trampoline_kernelINS0_14default_configENS1_25partition_config_selectorILNS1_17partition_subalgoE9EiibEEZZNS1_14partition_implILS5_9ELb0ES3_jPKiN6thrust23THRUST_200600_302600_NS17counting_iteratorIiNSB_11use_defaultESD_SD_EEPNS0_10empty_typeENS0_5tupleIJPiSF_EEENSH_IJSI_SG_EEENS0_18inequality_wrapperIN6hipcub16HIPCUB_304000_NS8EqualityEEEPlJSF_EEE10hipError_tPvRmT3_T4_T5_T6_T7_T9_mT8_P12ihipStream_tbDpT10_ENKUlT_T0_E_clISt17integral_constantIbLb0EES1A_EEDaS15_S16_EUlS15_E_NS1_11comp_targetILNS1_3genE2ELNS1_11target_archE906ELNS1_3gpuE6ELNS1_3repE0EEENS1_30default_config_static_selectorELNS0_4arch9wavefront6targetE1EEEvT1_
; %bb.0:
	.section	.rodata,"a",@progbits
	.p2align	6, 0x0
	.amdhsa_kernel _ZN7rocprim17ROCPRIM_400000_NS6detail17trampoline_kernelINS0_14default_configENS1_25partition_config_selectorILNS1_17partition_subalgoE9EiibEEZZNS1_14partition_implILS5_9ELb0ES3_jPKiN6thrust23THRUST_200600_302600_NS17counting_iteratorIiNSB_11use_defaultESD_SD_EEPNS0_10empty_typeENS0_5tupleIJPiSF_EEENSH_IJSI_SG_EEENS0_18inequality_wrapperIN6hipcub16HIPCUB_304000_NS8EqualityEEEPlJSF_EEE10hipError_tPvRmT3_T4_T5_T6_T7_T9_mT8_P12ihipStream_tbDpT10_ENKUlT_T0_E_clISt17integral_constantIbLb0EES1A_EEDaS15_S16_EUlS15_E_NS1_11comp_targetILNS1_3genE2ELNS1_11target_archE906ELNS1_3gpuE6ELNS1_3repE0EEENS1_30default_config_static_selectorELNS0_4arch9wavefront6targetE1EEEvT1_
		.amdhsa_group_segment_fixed_size 0
		.amdhsa_private_segment_fixed_size 0
		.amdhsa_kernarg_size 112
		.amdhsa_user_sgpr_count 2
		.amdhsa_user_sgpr_dispatch_ptr 0
		.amdhsa_user_sgpr_queue_ptr 0
		.amdhsa_user_sgpr_kernarg_segment_ptr 1
		.amdhsa_user_sgpr_dispatch_id 0
		.amdhsa_user_sgpr_kernarg_preload_length 0
		.amdhsa_user_sgpr_kernarg_preload_offset 0
		.amdhsa_user_sgpr_private_segment_size 0
		.amdhsa_uses_dynamic_stack 0
		.amdhsa_enable_private_segment 0
		.amdhsa_system_sgpr_workgroup_id_x 1
		.amdhsa_system_sgpr_workgroup_id_y 0
		.amdhsa_system_sgpr_workgroup_id_z 0
		.amdhsa_system_sgpr_workgroup_info 0
		.amdhsa_system_vgpr_workitem_id 0
		.amdhsa_next_free_vgpr 1
		.amdhsa_next_free_sgpr 0
		.amdhsa_accum_offset 4
		.amdhsa_reserve_vcc 0
		.amdhsa_float_round_mode_32 0
		.amdhsa_float_round_mode_16_64 0
		.amdhsa_float_denorm_mode_32 3
		.amdhsa_float_denorm_mode_16_64 3
		.amdhsa_dx10_clamp 1
		.amdhsa_ieee_mode 1
		.amdhsa_fp16_overflow 0
		.amdhsa_tg_split 0
		.amdhsa_exception_fp_ieee_invalid_op 0
		.amdhsa_exception_fp_denorm_src 0
		.amdhsa_exception_fp_ieee_div_zero 0
		.amdhsa_exception_fp_ieee_overflow 0
		.amdhsa_exception_fp_ieee_underflow 0
		.amdhsa_exception_fp_ieee_inexact 0
		.amdhsa_exception_int_div_zero 0
	.end_amdhsa_kernel
	.section	.text._ZN7rocprim17ROCPRIM_400000_NS6detail17trampoline_kernelINS0_14default_configENS1_25partition_config_selectorILNS1_17partition_subalgoE9EiibEEZZNS1_14partition_implILS5_9ELb0ES3_jPKiN6thrust23THRUST_200600_302600_NS17counting_iteratorIiNSB_11use_defaultESD_SD_EEPNS0_10empty_typeENS0_5tupleIJPiSF_EEENSH_IJSI_SG_EEENS0_18inequality_wrapperIN6hipcub16HIPCUB_304000_NS8EqualityEEEPlJSF_EEE10hipError_tPvRmT3_T4_T5_T6_T7_T9_mT8_P12ihipStream_tbDpT10_ENKUlT_T0_E_clISt17integral_constantIbLb0EES1A_EEDaS15_S16_EUlS15_E_NS1_11comp_targetILNS1_3genE2ELNS1_11target_archE906ELNS1_3gpuE6ELNS1_3repE0EEENS1_30default_config_static_selectorELNS0_4arch9wavefront6targetE1EEEvT1_,"axG",@progbits,_ZN7rocprim17ROCPRIM_400000_NS6detail17trampoline_kernelINS0_14default_configENS1_25partition_config_selectorILNS1_17partition_subalgoE9EiibEEZZNS1_14partition_implILS5_9ELb0ES3_jPKiN6thrust23THRUST_200600_302600_NS17counting_iteratorIiNSB_11use_defaultESD_SD_EEPNS0_10empty_typeENS0_5tupleIJPiSF_EEENSH_IJSI_SG_EEENS0_18inequality_wrapperIN6hipcub16HIPCUB_304000_NS8EqualityEEEPlJSF_EEE10hipError_tPvRmT3_T4_T5_T6_T7_T9_mT8_P12ihipStream_tbDpT10_ENKUlT_T0_E_clISt17integral_constantIbLb0EES1A_EEDaS15_S16_EUlS15_E_NS1_11comp_targetILNS1_3genE2ELNS1_11target_archE906ELNS1_3gpuE6ELNS1_3repE0EEENS1_30default_config_static_selectorELNS0_4arch9wavefront6targetE1EEEvT1_,comdat
.Lfunc_end5:
	.size	_ZN7rocprim17ROCPRIM_400000_NS6detail17trampoline_kernelINS0_14default_configENS1_25partition_config_selectorILNS1_17partition_subalgoE9EiibEEZZNS1_14partition_implILS5_9ELb0ES3_jPKiN6thrust23THRUST_200600_302600_NS17counting_iteratorIiNSB_11use_defaultESD_SD_EEPNS0_10empty_typeENS0_5tupleIJPiSF_EEENSH_IJSI_SG_EEENS0_18inequality_wrapperIN6hipcub16HIPCUB_304000_NS8EqualityEEEPlJSF_EEE10hipError_tPvRmT3_T4_T5_T6_T7_T9_mT8_P12ihipStream_tbDpT10_ENKUlT_T0_E_clISt17integral_constantIbLb0EES1A_EEDaS15_S16_EUlS15_E_NS1_11comp_targetILNS1_3genE2ELNS1_11target_archE906ELNS1_3gpuE6ELNS1_3repE0EEENS1_30default_config_static_selectorELNS0_4arch9wavefront6targetE1EEEvT1_, .Lfunc_end5-_ZN7rocprim17ROCPRIM_400000_NS6detail17trampoline_kernelINS0_14default_configENS1_25partition_config_selectorILNS1_17partition_subalgoE9EiibEEZZNS1_14partition_implILS5_9ELb0ES3_jPKiN6thrust23THRUST_200600_302600_NS17counting_iteratorIiNSB_11use_defaultESD_SD_EEPNS0_10empty_typeENS0_5tupleIJPiSF_EEENSH_IJSI_SG_EEENS0_18inequality_wrapperIN6hipcub16HIPCUB_304000_NS8EqualityEEEPlJSF_EEE10hipError_tPvRmT3_T4_T5_T6_T7_T9_mT8_P12ihipStream_tbDpT10_ENKUlT_T0_E_clISt17integral_constantIbLb0EES1A_EEDaS15_S16_EUlS15_E_NS1_11comp_targetILNS1_3genE2ELNS1_11target_archE906ELNS1_3gpuE6ELNS1_3repE0EEENS1_30default_config_static_selectorELNS0_4arch9wavefront6targetE1EEEvT1_
                                        ; -- End function
	.section	.AMDGPU.csdata,"",@progbits
; Kernel info:
; codeLenInByte = 0
; NumSgprs: 6
; NumVgprs: 0
; NumAgprs: 0
; TotalNumVgprs: 0
; ScratchSize: 0
; MemoryBound: 0
; FloatMode: 240
; IeeeMode: 1
; LDSByteSize: 0 bytes/workgroup (compile time only)
; SGPRBlocks: 0
; VGPRBlocks: 0
; NumSGPRsForWavesPerEU: 6
; NumVGPRsForWavesPerEU: 1
; AccumOffset: 4
; Occupancy: 8
; WaveLimiterHint : 0
; COMPUTE_PGM_RSRC2:SCRATCH_EN: 0
; COMPUTE_PGM_RSRC2:USER_SGPR: 2
; COMPUTE_PGM_RSRC2:TRAP_HANDLER: 0
; COMPUTE_PGM_RSRC2:TGID_X_EN: 1
; COMPUTE_PGM_RSRC2:TGID_Y_EN: 0
; COMPUTE_PGM_RSRC2:TGID_Z_EN: 0
; COMPUTE_PGM_RSRC2:TIDIG_COMP_CNT: 0
; COMPUTE_PGM_RSRC3_GFX90A:ACCUM_OFFSET: 0
; COMPUTE_PGM_RSRC3_GFX90A:TG_SPLIT: 0
	.section	.text._ZN7rocprim17ROCPRIM_400000_NS6detail17trampoline_kernelINS0_14default_configENS1_25partition_config_selectorILNS1_17partition_subalgoE9EiibEEZZNS1_14partition_implILS5_9ELb0ES3_jPKiN6thrust23THRUST_200600_302600_NS17counting_iteratorIiNSB_11use_defaultESD_SD_EEPNS0_10empty_typeENS0_5tupleIJPiSF_EEENSH_IJSI_SG_EEENS0_18inequality_wrapperIN6hipcub16HIPCUB_304000_NS8EqualityEEEPlJSF_EEE10hipError_tPvRmT3_T4_T5_T6_T7_T9_mT8_P12ihipStream_tbDpT10_ENKUlT_T0_E_clISt17integral_constantIbLb0EES1A_EEDaS15_S16_EUlS15_E_NS1_11comp_targetILNS1_3genE10ELNS1_11target_archE1200ELNS1_3gpuE4ELNS1_3repE0EEENS1_30default_config_static_selectorELNS0_4arch9wavefront6targetE1EEEvT1_,"axG",@progbits,_ZN7rocprim17ROCPRIM_400000_NS6detail17trampoline_kernelINS0_14default_configENS1_25partition_config_selectorILNS1_17partition_subalgoE9EiibEEZZNS1_14partition_implILS5_9ELb0ES3_jPKiN6thrust23THRUST_200600_302600_NS17counting_iteratorIiNSB_11use_defaultESD_SD_EEPNS0_10empty_typeENS0_5tupleIJPiSF_EEENSH_IJSI_SG_EEENS0_18inequality_wrapperIN6hipcub16HIPCUB_304000_NS8EqualityEEEPlJSF_EEE10hipError_tPvRmT3_T4_T5_T6_T7_T9_mT8_P12ihipStream_tbDpT10_ENKUlT_T0_E_clISt17integral_constantIbLb0EES1A_EEDaS15_S16_EUlS15_E_NS1_11comp_targetILNS1_3genE10ELNS1_11target_archE1200ELNS1_3gpuE4ELNS1_3repE0EEENS1_30default_config_static_selectorELNS0_4arch9wavefront6targetE1EEEvT1_,comdat
	.protected	_ZN7rocprim17ROCPRIM_400000_NS6detail17trampoline_kernelINS0_14default_configENS1_25partition_config_selectorILNS1_17partition_subalgoE9EiibEEZZNS1_14partition_implILS5_9ELb0ES3_jPKiN6thrust23THRUST_200600_302600_NS17counting_iteratorIiNSB_11use_defaultESD_SD_EEPNS0_10empty_typeENS0_5tupleIJPiSF_EEENSH_IJSI_SG_EEENS0_18inequality_wrapperIN6hipcub16HIPCUB_304000_NS8EqualityEEEPlJSF_EEE10hipError_tPvRmT3_T4_T5_T6_T7_T9_mT8_P12ihipStream_tbDpT10_ENKUlT_T0_E_clISt17integral_constantIbLb0EES1A_EEDaS15_S16_EUlS15_E_NS1_11comp_targetILNS1_3genE10ELNS1_11target_archE1200ELNS1_3gpuE4ELNS1_3repE0EEENS1_30default_config_static_selectorELNS0_4arch9wavefront6targetE1EEEvT1_ ; -- Begin function _ZN7rocprim17ROCPRIM_400000_NS6detail17trampoline_kernelINS0_14default_configENS1_25partition_config_selectorILNS1_17partition_subalgoE9EiibEEZZNS1_14partition_implILS5_9ELb0ES3_jPKiN6thrust23THRUST_200600_302600_NS17counting_iteratorIiNSB_11use_defaultESD_SD_EEPNS0_10empty_typeENS0_5tupleIJPiSF_EEENSH_IJSI_SG_EEENS0_18inequality_wrapperIN6hipcub16HIPCUB_304000_NS8EqualityEEEPlJSF_EEE10hipError_tPvRmT3_T4_T5_T6_T7_T9_mT8_P12ihipStream_tbDpT10_ENKUlT_T0_E_clISt17integral_constantIbLb0EES1A_EEDaS15_S16_EUlS15_E_NS1_11comp_targetILNS1_3genE10ELNS1_11target_archE1200ELNS1_3gpuE4ELNS1_3repE0EEENS1_30default_config_static_selectorELNS0_4arch9wavefront6targetE1EEEvT1_
	.globl	_ZN7rocprim17ROCPRIM_400000_NS6detail17trampoline_kernelINS0_14default_configENS1_25partition_config_selectorILNS1_17partition_subalgoE9EiibEEZZNS1_14partition_implILS5_9ELb0ES3_jPKiN6thrust23THRUST_200600_302600_NS17counting_iteratorIiNSB_11use_defaultESD_SD_EEPNS0_10empty_typeENS0_5tupleIJPiSF_EEENSH_IJSI_SG_EEENS0_18inequality_wrapperIN6hipcub16HIPCUB_304000_NS8EqualityEEEPlJSF_EEE10hipError_tPvRmT3_T4_T5_T6_T7_T9_mT8_P12ihipStream_tbDpT10_ENKUlT_T0_E_clISt17integral_constantIbLb0EES1A_EEDaS15_S16_EUlS15_E_NS1_11comp_targetILNS1_3genE10ELNS1_11target_archE1200ELNS1_3gpuE4ELNS1_3repE0EEENS1_30default_config_static_selectorELNS0_4arch9wavefront6targetE1EEEvT1_
	.p2align	8
	.type	_ZN7rocprim17ROCPRIM_400000_NS6detail17trampoline_kernelINS0_14default_configENS1_25partition_config_selectorILNS1_17partition_subalgoE9EiibEEZZNS1_14partition_implILS5_9ELb0ES3_jPKiN6thrust23THRUST_200600_302600_NS17counting_iteratorIiNSB_11use_defaultESD_SD_EEPNS0_10empty_typeENS0_5tupleIJPiSF_EEENSH_IJSI_SG_EEENS0_18inequality_wrapperIN6hipcub16HIPCUB_304000_NS8EqualityEEEPlJSF_EEE10hipError_tPvRmT3_T4_T5_T6_T7_T9_mT8_P12ihipStream_tbDpT10_ENKUlT_T0_E_clISt17integral_constantIbLb0EES1A_EEDaS15_S16_EUlS15_E_NS1_11comp_targetILNS1_3genE10ELNS1_11target_archE1200ELNS1_3gpuE4ELNS1_3repE0EEENS1_30default_config_static_selectorELNS0_4arch9wavefront6targetE1EEEvT1_,@function
_ZN7rocprim17ROCPRIM_400000_NS6detail17trampoline_kernelINS0_14default_configENS1_25partition_config_selectorILNS1_17partition_subalgoE9EiibEEZZNS1_14partition_implILS5_9ELb0ES3_jPKiN6thrust23THRUST_200600_302600_NS17counting_iteratorIiNSB_11use_defaultESD_SD_EEPNS0_10empty_typeENS0_5tupleIJPiSF_EEENSH_IJSI_SG_EEENS0_18inequality_wrapperIN6hipcub16HIPCUB_304000_NS8EqualityEEEPlJSF_EEE10hipError_tPvRmT3_T4_T5_T6_T7_T9_mT8_P12ihipStream_tbDpT10_ENKUlT_T0_E_clISt17integral_constantIbLb0EES1A_EEDaS15_S16_EUlS15_E_NS1_11comp_targetILNS1_3genE10ELNS1_11target_archE1200ELNS1_3gpuE4ELNS1_3repE0EEENS1_30default_config_static_selectorELNS0_4arch9wavefront6targetE1EEEvT1_: ; @_ZN7rocprim17ROCPRIM_400000_NS6detail17trampoline_kernelINS0_14default_configENS1_25partition_config_selectorILNS1_17partition_subalgoE9EiibEEZZNS1_14partition_implILS5_9ELb0ES3_jPKiN6thrust23THRUST_200600_302600_NS17counting_iteratorIiNSB_11use_defaultESD_SD_EEPNS0_10empty_typeENS0_5tupleIJPiSF_EEENSH_IJSI_SG_EEENS0_18inequality_wrapperIN6hipcub16HIPCUB_304000_NS8EqualityEEEPlJSF_EEE10hipError_tPvRmT3_T4_T5_T6_T7_T9_mT8_P12ihipStream_tbDpT10_ENKUlT_T0_E_clISt17integral_constantIbLb0EES1A_EEDaS15_S16_EUlS15_E_NS1_11comp_targetILNS1_3genE10ELNS1_11target_archE1200ELNS1_3gpuE4ELNS1_3repE0EEENS1_30default_config_static_selectorELNS0_4arch9wavefront6targetE1EEEvT1_
; %bb.0:
	.section	.rodata,"a",@progbits
	.p2align	6, 0x0
	.amdhsa_kernel _ZN7rocprim17ROCPRIM_400000_NS6detail17trampoline_kernelINS0_14default_configENS1_25partition_config_selectorILNS1_17partition_subalgoE9EiibEEZZNS1_14partition_implILS5_9ELb0ES3_jPKiN6thrust23THRUST_200600_302600_NS17counting_iteratorIiNSB_11use_defaultESD_SD_EEPNS0_10empty_typeENS0_5tupleIJPiSF_EEENSH_IJSI_SG_EEENS0_18inequality_wrapperIN6hipcub16HIPCUB_304000_NS8EqualityEEEPlJSF_EEE10hipError_tPvRmT3_T4_T5_T6_T7_T9_mT8_P12ihipStream_tbDpT10_ENKUlT_T0_E_clISt17integral_constantIbLb0EES1A_EEDaS15_S16_EUlS15_E_NS1_11comp_targetILNS1_3genE10ELNS1_11target_archE1200ELNS1_3gpuE4ELNS1_3repE0EEENS1_30default_config_static_selectorELNS0_4arch9wavefront6targetE1EEEvT1_
		.amdhsa_group_segment_fixed_size 0
		.amdhsa_private_segment_fixed_size 0
		.amdhsa_kernarg_size 112
		.amdhsa_user_sgpr_count 2
		.amdhsa_user_sgpr_dispatch_ptr 0
		.amdhsa_user_sgpr_queue_ptr 0
		.amdhsa_user_sgpr_kernarg_segment_ptr 1
		.amdhsa_user_sgpr_dispatch_id 0
		.amdhsa_user_sgpr_kernarg_preload_length 0
		.amdhsa_user_sgpr_kernarg_preload_offset 0
		.amdhsa_user_sgpr_private_segment_size 0
		.amdhsa_uses_dynamic_stack 0
		.amdhsa_enable_private_segment 0
		.amdhsa_system_sgpr_workgroup_id_x 1
		.amdhsa_system_sgpr_workgroup_id_y 0
		.amdhsa_system_sgpr_workgroup_id_z 0
		.amdhsa_system_sgpr_workgroup_info 0
		.amdhsa_system_vgpr_workitem_id 0
		.amdhsa_next_free_vgpr 1
		.amdhsa_next_free_sgpr 0
		.amdhsa_accum_offset 4
		.amdhsa_reserve_vcc 0
		.amdhsa_float_round_mode_32 0
		.amdhsa_float_round_mode_16_64 0
		.amdhsa_float_denorm_mode_32 3
		.amdhsa_float_denorm_mode_16_64 3
		.amdhsa_dx10_clamp 1
		.amdhsa_ieee_mode 1
		.amdhsa_fp16_overflow 0
		.amdhsa_tg_split 0
		.amdhsa_exception_fp_ieee_invalid_op 0
		.amdhsa_exception_fp_denorm_src 0
		.amdhsa_exception_fp_ieee_div_zero 0
		.amdhsa_exception_fp_ieee_overflow 0
		.amdhsa_exception_fp_ieee_underflow 0
		.amdhsa_exception_fp_ieee_inexact 0
		.amdhsa_exception_int_div_zero 0
	.end_amdhsa_kernel
	.section	.text._ZN7rocprim17ROCPRIM_400000_NS6detail17trampoline_kernelINS0_14default_configENS1_25partition_config_selectorILNS1_17partition_subalgoE9EiibEEZZNS1_14partition_implILS5_9ELb0ES3_jPKiN6thrust23THRUST_200600_302600_NS17counting_iteratorIiNSB_11use_defaultESD_SD_EEPNS0_10empty_typeENS0_5tupleIJPiSF_EEENSH_IJSI_SG_EEENS0_18inequality_wrapperIN6hipcub16HIPCUB_304000_NS8EqualityEEEPlJSF_EEE10hipError_tPvRmT3_T4_T5_T6_T7_T9_mT8_P12ihipStream_tbDpT10_ENKUlT_T0_E_clISt17integral_constantIbLb0EES1A_EEDaS15_S16_EUlS15_E_NS1_11comp_targetILNS1_3genE10ELNS1_11target_archE1200ELNS1_3gpuE4ELNS1_3repE0EEENS1_30default_config_static_selectorELNS0_4arch9wavefront6targetE1EEEvT1_,"axG",@progbits,_ZN7rocprim17ROCPRIM_400000_NS6detail17trampoline_kernelINS0_14default_configENS1_25partition_config_selectorILNS1_17partition_subalgoE9EiibEEZZNS1_14partition_implILS5_9ELb0ES3_jPKiN6thrust23THRUST_200600_302600_NS17counting_iteratorIiNSB_11use_defaultESD_SD_EEPNS0_10empty_typeENS0_5tupleIJPiSF_EEENSH_IJSI_SG_EEENS0_18inequality_wrapperIN6hipcub16HIPCUB_304000_NS8EqualityEEEPlJSF_EEE10hipError_tPvRmT3_T4_T5_T6_T7_T9_mT8_P12ihipStream_tbDpT10_ENKUlT_T0_E_clISt17integral_constantIbLb0EES1A_EEDaS15_S16_EUlS15_E_NS1_11comp_targetILNS1_3genE10ELNS1_11target_archE1200ELNS1_3gpuE4ELNS1_3repE0EEENS1_30default_config_static_selectorELNS0_4arch9wavefront6targetE1EEEvT1_,comdat
.Lfunc_end6:
	.size	_ZN7rocprim17ROCPRIM_400000_NS6detail17trampoline_kernelINS0_14default_configENS1_25partition_config_selectorILNS1_17partition_subalgoE9EiibEEZZNS1_14partition_implILS5_9ELb0ES3_jPKiN6thrust23THRUST_200600_302600_NS17counting_iteratorIiNSB_11use_defaultESD_SD_EEPNS0_10empty_typeENS0_5tupleIJPiSF_EEENSH_IJSI_SG_EEENS0_18inequality_wrapperIN6hipcub16HIPCUB_304000_NS8EqualityEEEPlJSF_EEE10hipError_tPvRmT3_T4_T5_T6_T7_T9_mT8_P12ihipStream_tbDpT10_ENKUlT_T0_E_clISt17integral_constantIbLb0EES1A_EEDaS15_S16_EUlS15_E_NS1_11comp_targetILNS1_3genE10ELNS1_11target_archE1200ELNS1_3gpuE4ELNS1_3repE0EEENS1_30default_config_static_selectorELNS0_4arch9wavefront6targetE1EEEvT1_, .Lfunc_end6-_ZN7rocprim17ROCPRIM_400000_NS6detail17trampoline_kernelINS0_14default_configENS1_25partition_config_selectorILNS1_17partition_subalgoE9EiibEEZZNS1_14partition_implILS5_9ELb0ES3_jPKiN6thrust23THRUST_200600_302600_NS17counting_iteratorIiNSB_11use_defaultESD_SD_EEPNS0_10empty_typeENS0_5tupleIJPiSF_EEENSH_IJSI_SG_EEENS0_18inequality_wrapperIN6hipcub16HIPCUB_304000_NS8EqualityEEEPlJSF_EEE10hipError_tPvRmT3_T4_T5_T6_T7_T9_mT8_P12ihipStream_tbDpT10_ENKUlT_T0_E_clISt17integral_constantIbLb0EES1A_EEDaS15_S16_EUlS15_E_NS1_11comp_targetILNS1_3genE10ELNS1_11target_archE1200ELNS1_3gpuE4ELNS1_3repE0EEENS1_30default_config_static_selectorELNS0_4arch9wavefront6targetE1EEEvT1_
                                        ; -- End function
	.section	.AMDGPU.csdata,"",@progbits
; Kernel info:
; codeLenInByte = 0
; NumSgprs: 6
; NumVgprs: 0
; NumAgprs: 0
; TotalNumVgprs: 0
; ScratchSize: 0
; MemoryBound: 0
; FloatMode: 240
; IeeeMode: 1
; LDSByteSize: 0 bytes/workgroup (compile time only)
; SGPRBlocks: 0
; VGPRBlocks: 0
; NumSGPRsForWavesPerEU: 6
; NumVGPRsForWavesPerEU: 1
; AccumOffset: 4
; Occupancy: 8
; WaveLimiterHint : 0
; COMPUTE_PGM_RSRC2:SCRATCH_EN: 0
; COMPUTE_PGM_RSRC2:USER_SGPR: 2
; COMPUTE_PGM_RSRC2:TRAP_HANDLER: 0
; COMPUTE_PGM_RSRC2:TGID_X_EN: 1
; COMPUTE_PGM_RSRC2:TGID_Y_EN: 0
; COMPUTE_PGM_RSRC2:TGID_Z_EN: 0
; COMPUTE_PGM_RSRC2:TIDIG_COMP_CNT: 0
; COMPUTE_PGM_RSRC3_GFX90A:ACCUM_OFFSET: 0
; COMPUTE_PGM_RSRC3_GFX90A:TG_SPLIT: 0
	.section	.text._ZN7rocprim17ROCPRIM_400000_NS6detail17trampoline_kernelINS0_14default_configENS1_25partition_config_selectorILNS1_17partition_subalgoE9EiibEEZZNS1_14partition_implILS5_9ELb0ES3_jPKiN6thrust23THRUST_200600_302600_NS17counting_iteratorIiNSB_11use_defaultESD_SD_EEPNS0_10empty_typeENS0_5tupleIJPiSF_EEENSH_IJSI_SG_EEENS0_18inequality_wrapperIN6hipcub16HIPCUB_304000_NS8EqualityEEEPlJSF_EEE10hipError_tPvRmT3_T4_T5_T6_T7_T9_mT8_P12ihipStream_tbDpT10_ENKUlT_T0_E_clISt17integral_constantIbLb0EES1A_EEDaS15_S16_EUlS15_E_NS1_11comp_targetILNS1_3genE9ELNS1_11target_archE1100ELNS1_3gpuE3ELNS1_3repE0EEENS1_30default_config_static_selectorELNS0_4arch9wavefront6targetE1EEEvT1_,"axG",@progbits,_ZN7rocprim17ROCPRIM_400000_NS6detail17trampoline_kernelINS0_14default_configENS1_25partition_config_selectorILNS1_17partition_subalgoE9EiibEEZZNS1_14partition_implILS5_9ELb0ES3_jPKiN6thrust23THRUST_200600_302600_NS17counting_iteratorIiNSB_11use_defaultESD_SD_EEPNS0_10empty_typeENS0_5tupleIJPiSF_EEENSH_IJSI_SG_EEENS0_18inequality_wrapperIN6hipcub16HIPCUB_304000_NS8EqualityEEEPlJSF_EEE10hipError_tPvRmT3_T4_T5_T6_T7_T9_mT8_P12ihipStream_tbDpT10_ENKUlT_T0_E_clISt17integral_constantIbLb0EES1A_EEDaS15_S16_EUlS15_E_NS1_11comp_targetILNS1_3genE9ELNS1_11target_archE1100ELNS1_3gpuE3ELNS1_3repE0EEENS1_30default_config_static_selectorELNS0_4arch9wavefront6targetE1EEEvT1_,comdat
	.protected	_ZN7rocprim17ROCPRIM_400000_NS6detail17trampoline_kernelINS0_14default_configENS1_25partition_config_selectorILNS1_17partition_subalgoE9EiibEEZZNS1_14partition_implILS5_9ELb0ES3_jPKiN6thrust23THRUST_200600_302600_NS17counting_iteratorIiNSB_11use_defaultESD_SD_EEPNS0_10empty_typeENS0_5tupleIJPiSF_EEENSH_IJSI_SG_EEENS0_18inequality_wrapperIN6hipcub16HIPCUB_304000_NS8EqualityEEEPlJSF_EEE10hipError_tPvRmT3_T4_T5_T6_T7_T9_mT8_P12ihipStream_tbDpT10_ENKUlT_T0_E_clISt17integral_constantIbLb0EES1A_EEDaS15_S16_EUlS15_E_NS1_11comp_targetILNS1_3genE9ELNS1_11target_archE1100ELNS1_3gpuE3ELNS1_3repE0EEENS1_30default_config_static_selectorELNS0_4arch9wavefront6targetE1EEEvT1_ ; -- Begin function _ZN7rocprim17ROCPRIM_400000_NS6detail17trampoline_kernelINS0_14default_configENS1_25partition_config_selectorILNS1_17partition_subalgoE9EiibEEZZNS1_14partition_implILS5_9ELb0ES3_jPKiN6thrust23THRUST_200600_302600_NS17counting_iteratorIiNSB_11use_defaultESD_SD_EEPNS0_10empty_typeENS0_5tupleIJPiSF_EEENSH_IJSI_SG_EEENS0_18inequality_wrapperIN6hipcub16HIPCUB_304000_NS8EqualityEEEPlJSF_EEE10hipError_tPvRmT3_T4_T5_T6_T7_T9_mT8_P12ihipStream_tbDpT10_ENKUlT_T0_E_clISt17integral_constantIbLb0EES1A_EEDaS15_S16_EUlS15_E_NS1_11comp_targetILNS1_3genE9ELNS1_11target_archE1100ELNS1_3gpuE3ELNS1_3repE0EEENS1_30default_config_static_selectorELNS0_4arch9wavefront6targetE1EEEvT1_
	.globl	_ZN7rocprim17ROCPRIM_400000_NS6detail17trampoline_kernelINS0_14default_configENS1_25partition_config_selectorILNS1_17partition_subalgoE9EiibEEZZNS1_14partition_implILS5_9ELb0ES3_jPKiN6thrust23THRUST_200600_302600_NS17counting_iteratorIiNSB_11use_defaultESD_SD_EEPNS0_10empty_typeENS0_5tupleIJPiSF_EEENSH_IJSI_SG_EEENS0_18inequality_wrapperIN6hipcub16HIPCUB_304000_NS8EqualityEEEPlJSF_EEE10hipError_tPvRmT3_T4_T5_T6_T7_T9_mT8_P12ihipStream_tbDpT10_ENKUlT_T0_E_clISt17integral_constantIbLb0EES1A_EEDaS15_S16_EUlS15_E_NS1_11comp_targetILNS1_3genE9ELNS1_11target_archE1100ELNS1_3gpuE3ELNS1_3repE0EEENS1_30default_config_static_selectorELNS0_4arch9wavefront6targetE1EEEvT1_
	.p2align	8
	.type	_ZN7rocprim17ROCPRIM_400000_NS6detail17trampoline_kernelINS0_14default_configENS1_25partition_config_selectorILNS1_17partition_subalgoE9EiibEEZZNS1_14partition_implILS5_9ELb0ES3_jPKiN6thrust23THRUST_200600_302600_NS17counting_iteratorIiNSB_11use_defaultESD_SD_EEPNS0_10empty_typeENS0_5tupleIJPiSF_EEENSH_IJSI_SG_EEENS0_18inequality_wrapperIN6hipcub16HIPCUB_304000_NS8EqualityEEEPlJSF_EEE10hipError_tPvRmT3_T4_T5_T6_T7_T9_mT8_P12ihipStream_tbDpT10_ENKUlT_T0_E_clISt17integral_constantIbLb0EES1A_EEDaS15_S16_EUlS15_E_NS1_11comp_targetILNS1_3genE9ELNS1_11target_archE1100ELNS1_3gpuE3ELNS1_3repE0EEENS1_30default_config_static_selectorELNS0_4arch9wavefront6targetE1EEEvT1_,@function
_ZN7rocprim17ROCPRIM_400000_NS6detail17trampoline_kernelINS0_14default_configENS1_25partition_config_selectorILNS1_17partition_subalgoE9EiibEEZZNS1_14partition_implILS5_9ELb0ES3_jPKiN6thrust23THRUST_200600_302600_NS17counting_iteratorIiNSB_11use_defaultESD_SD_EEPNS0_10empty_typeENS0_5tupleIJPiSF_EEENSH_IJSI_SG_EEENS0_18inequality_wrapperIN6hipcub16HIPCUB_304000_NS8EqualityEEEPlJSF_EEE10hipError_tPvRmT3_T4_T5_T6_T7_T9_mT8_P12ihipStream_tbDpT10_ENKUlT_T0_E_clISt17integral_constantIbLb0EES1A_EEDaS15_S16_EUlS15_E_NS1_11comp_targetILNS1_3genE9ELNS1_11target_archE1100ELNS1_3gpuE3ELNS1_3repE0EEENS1_30default_config_static_selectorELNS0_4arch9wavefront6targetE1EEEvT1_: ; @_ZN7rocprim17ROCPRIM_400000_NS6detail17trampoline_kernelINS0_14default_configENS1_25partition_config_selectorILNS1_17partition_subalgoE9EiibEEZZNS1_14partition_implILS5_9ELb0ES3_jPKiN6thrust23THRUST_200600_302600_NS17counting_iteratorIiNSB_11use_defaultESD_SD_EEPNS0_10empty_typeENS0_5tupleIJPiSF_EEENSH_IJSI_SG_EEENS0_18inequality_wrapperIN6hipcub16HIPCUB_304000_NS8EqualityEEEPlJSF_EEE10hipError_tPvRmT3_T4_T5_T6_T7_T9_mT8_P12ihipStream_tbDpT10_ENKUlT_T0_E_clISt17integral_constantIbLb0EES1A_EEDaS15_S16_EUlS15_E_NS1_11comp_targetILNS1_3genE9ELNS1_11target_archE1100ELNS1_3gpuE3ELNS1_3repE0EEENS1_30default_config_static_selectorELNS0_4arch9wavefront6targetE1EEEvT1_
; %bb.0:
	.section	.rodata,"a",@progbits
	.p2align	6, 0x0
	.amdhsa_kernel _ZN7rocprim17ROCPRIM_400000_NS6detail17trampoline_kernelINS0_14default_configENS1_25partition_config_selectorILNS1_17partition_subalgoE9EiibEEZZNS1_14partition_implILS5_9ELb0ES3_jPKiN6thrust23THRUST_200600_302600_NS17counting_iteratorIiNSB_11use_defaultESD_SD_EEPNS0_10empty_typeENS0_5tupleIJPiSF_EEENSH_IJSI_SG_EEENS0_18inequality_wrapperIN6hipcub16HIPCUB_304000_NS8EqualityEEEPlJSF_EEE10hipError_tPvRmT3_T4_T5_T6_T7_T9_mT8_P12ihipStream_tbDpT10_ENKUlT_T0_E_clISt17integral_constantIbLb0EES1A_EEDaS15_S16_EUlS15_E_NS1_11comp_targetILNS1_3genE9ELNS1_11target_archE1100ELNS1_3gpuE3ELNS1_3repE0EEENS1_30default_config_static_selectorELNS0_4arch9wavefront6targetE1EEEvT1_
		.amdhsa_group_segment_fixed_size 0
		.amdhsa_private_segment_fixed_size 0
		.amdhsa_kernarg_size 112
		.amdhsa_user_sgpr_count 2
		.amdhsa_user_sgpr_dispatch_ptr 0
		.amdhsa_user_sgpr_queue_ptr 0
		.amdhsa_user_sgpr_kernarg_segment_ptr 1
		.amdhsa_user_sgpr_dispatch_id 0
		.amdhsa_user_sgpr_kernarg_preload_length 0
		.amdhsa_user_sgpr_kernarg_preload_offset 0
		.amdhsa_user_sgpr_private_segment_size 0
		.amdhsa_uses_dynamic_stack 0
		.amdhsa_enable_private_segment 0
		.amdhsa_system_sgpr_workgroup_id_x 1
		.amdhsa_system_sgpr_workgroup_id_y 0
		.amdhsa_system_sgpr_workgroup_id_z 0
		.amdhsa_system_sgpr_workgroup_info 0
		.amdhsa_system_vgpr_workitem_id 0
		.amdhsa_next_free_vgpr 1
		.amdhsa_next_free_sgpr 0
		.amdhsa_accum_offset 4
		.amdhsa_reserve_vcc 0
		.amdhsa_float_round_mode_32 0
		.amdhsa_float_round_mode_16_64 0
		.amdhsa_float_denorm_mode_32 3
		.amdhsa_float_denorm_mode_16_64 3
		.amdhsa_dx10_clamp 1
		.amdhsa_ieee_mode 1
		.amdhsa_fp16_overflow 0
		.amdhsa_tg_split 0
		.amdhsa_exception_fp_ieee_invalid_op 0
		.amdhsa_exception_fp_denorm_src 0
		.amdhsa_exception_fp_ieee_div_zero 0
		.amdhsa_exception_fp_ieee_overflow 0
		.amdhsa_exception_fp_ieee_underflow 0
		.amdhsa_exception_fp_ieee_inexact 0
		.amdhsa_exception_int_div_zero 0
	.end_amdhsa_kernel
	.section	.text._ZN7rocprim17ROCPRIM_400000_NS6detail17trampoline_kernelINS0_14default_configENS1_25partition_config_selectorILNS1_17partition_subalgoE9EiibEEZZNS1_14partition_implILS5_9ELb0ES3_jPKiN6thrust23THRUST_200600_302600_NS17counting_iteratorIiNSB_11use_defaultESD_SD_EEPNS0_10empty_typeENS0_5tupleIJPiSF_EEENSH_IJSI_SG_EEENS0_18inequality_wrapperIN6hipcub16HIPCUB_304000_NS8EqualityEEEPlJSF_EEE10hipError_tPvRmT3_T4_T5_T6_T7_T9_mT8_P12ihipStream_tbDpT10_ENKUlT_T0_E_clISt17integral_constantIbLb0EES1A_EEDaS15_S16_EUlS15_E_NS1_11comp_targetILNS1_3genE9ELNS1_11target_archE1100ELNS1_3gpuE3ELNS1_3repE0EEENS1_30default_config_static_selectorELNS0_4arch9wavefront6targetE1EEEvT1_,"axG",@progbits,_ZN7rocprim17ROCPRIM_400000_NS6detail17trampoline_kernelINS0_14default_configENS1_25partition_config_selectorILNS1_17partition_subalgoE9EiibEEZZNS1_14partition_implILS5_9ELb0ES3_jPKiN6thrust23THRUST_200600_302600_NS17counting_iteratorIiNSB_11use_defaultESD_SD_EEPNS0_10empty_typeENS0_5tupleIJPiSF_EEENSH_IJSI_SG_EEENS0_18inequality_wrapperIN6hipcub16HIPCUB_304000_NS8EqualityEEEPlJSF_EEE10hipError_tPvRmT3_T4_T5_T6_T7_T9_mT8_P12ihipStream_tbDpT10_ENKUlT_T0_E_clISt17integral_constantIbLb0EES1A_EEDaS15_S16_EUlS15_E_NS1_11comp_targetILNS1_3genE9ELNS1_11target_archE1100ELNS1_3gpuE3ELNS1_3repE0EEENS1_30default_config_static_selectorELNS0_4arch9wavefront6targetE1EEEvT1_,comdat
.Lfunc_end7:
	.size	_ZN7rocprim17ROCPRIM_400000_NS6detail17trampoline_kernelINS0_14default_configENS1_25partition_config_selectorILNS1_17partition_subalgoE9EiibEEZZNS1_14partition_implILS5_9ELb0ES3_jPKiN6thrust23THRUST_200600_302600_NS17counting_iteratorIiNSB_11use_defaultESD_SD_EEPNS0_10empty_typeENS0_5tupleIJPiSF_EEENSH_IJSI_SG_EEENS0_18inequality_wrapperIN6hipcub16HIPCUB_304000_NS8EqualityEEEPlJSF_EEE10hipError_tPvRmT3_T4_T5_T6_T7_T9_mT8_P12ihipStream_tbDpT10_ENKUlT_T0_E_clISt17integral_constantIbLb0EES1A_EEDaS15_S16_EUlS15_E_NS1_11comp_targetILNS1_3genE9ELNS1_11target_archE1100ELNS1_3gpuE3ELNS1_3repE0EEENS1_30default_config_static_selectorELNS0_4arch9wavefront6targetE1EEEvT1_, .Lfunc_end7-_ZN7rocprim17ROCPRIM_400000_NS6detail17trampoline_kernelINS0_14default_configENS1_25partition_config_selectorILNS1_17partition_subalgoE9EiibEEZZNS1_14partition_implILS5_9ELb0ES3_jPKiN6thrust23THRUST_200600_302600_NS17counting_iteratorIiNSB_11use_defaultESD_SD_EEPNS0_10empty_typeENS0_5tupleIJPiSF_EEENSH_IJSI_SG_EEENS0_18inequality_wrapperIN6hipcub16HIPCUB_304000_NS8EqualityEEEPlJSF_EEE10hipError_tPvRmT3_T4_T5_T6_T7_T9_mT8_P12ihipStream_tbDpT10_ENKUlT_T0_E_clISt17integral_constantIbLb0EES1A_EEDaS15_S16_EUlS15_E_NS1_11comp_targetILNS1_3genE9ELNS1_11target_archE1100ELNS1_3gpuE3ELNS1_3repE0EEENS1_30default_config_static_selectorELNS0_4arch9wavefront6targetE1EEEvT1_
                                        ; -- End function
	.section	.AMDGPU.csdata,"",@progbits
; Kernel info:
; codeLenInByte = 0
; NumSgprs: 6
; NumVgprs: 0
; NumAgprs: 0
; TotalNumVgprs: 0
; ScratchSize: 0
; MemoryBound: 0
; FloatMode: 240
; IeeeMode: 1
; LDSByteSize: 0 bytes/workgroup (compile time only)
; SGPRBlocks: 0
; VGPRBlocks: 0
; NumSGPRsForWavesPerEU: 6
; NumVGPRsForWavesPerEU: 1
; AccumOffset: 4
; Occupancy: 8
; WaveLimiterHint : 0
; COMPUTE_PGM_RSRC2:SCRATCH_EN: 0
; COMPUTE_PGM_RSRC2:USER_SGPR: 2
; COMPUTE_PGM_RSRC2:TRAP_HANDLER: 0
; COMPUTE_PGM_RSRC2:TGID_X_EN: 1
; COMPUTE_PGM_RSRC2:TGID_Y_EN: 0
; COMPUTE_PGM_RSRC2:TGID_Z_EN: 0
; COMPUTE_PGM_RSRC2:TIDIG_COMP_CNT: 0
; COMPUTE_PGM_RSRC3_GFX90A:ACCUM_OFFSET: 0
; COMPUTE_PGM_RSRC3_GFX90A:TG_SPLIT: 0
	.section	.text._ZN7rocprim17ROCPRIM_400000_NS6detail17trampoline_kernelINS0_14default_configENS1_25partition_config_selectorILNS1_17partition_subalgoE9EiibEEZZNS1_14partition_implILS5_9ELb0ES3_jPKiN6thrust23THRUST_200600_302600_NS17counting_iteratorIiNSB_11use_defaultESD_SD_EEPNS0_10empty_typeENS0_5tupleIJPiSF_EEENSH_IJSI_SG_EEENS0_18inequality_wrapperIN6hipcub16HIPCUB_304000_NS8EqualityEEEPlJSF_EEE10hipError_tPvRmT3_T4_T5_T6_T7_T9_mT8_P12ihipStream_tbDpT10_ENKUlT_T0_E_clISt17integral_constantIbLb0EES1A_EEDaS15_S16_EUlS15_E_NS1_11comp_targetILNS1_3genE8ELNS1_11target_archE1030ELNS1_3gpuE2ELNS1_3repE0EEENS1_30default_config_static_selectorELNS0_4arch9wavefront6targetE1EEEvT1_,"axG",@progbits,_ZN7rocprim17ROCPRIM_400000_NS6detail17trampoline_kernelINS0_14default_configENS1_25partition_config_selectorILNS1_17partition_subalgoE9EiibEEZZNS1_14partition_implILS5_9ELb0ES3_jPKiN6thrust23THRUST_200600_302600_NS17counting_iteratorIiNSB_11use_defaultESD_SD_EEPNS0_10empty_typeENS0_5tupleIJPiSF_EEENSH_IJSI_SG_EEENS0_18inequality_wrapperIN6hipcub16HIPCUB_304000_NS8EqualityEEEPlJSF_EEE10hipError_tPvRmT3_T4_T5_T6_T7_T9_mT8_P12ihipStream_tbDpT10_ENKUlT_T0_E_clISt17integral_constantIbLb0EES1A_EEDaS15_S16_EUlS15_E_NS1_11comp_targetILNS1_3genE8ELNS1_11target_archE1030ELNS1_3gpuE2ELNS1_3repE0EEENS1_30default_config_static_selectorELNS0_4arch9wavefront6targetE1EEEvT1_,comdat
	.protected	_ZN7rocprim17ROCPRIM_400000_NS6detail17trampoline_kernelINS0_14default_configENS1_25partition_config_selectorILNS1_17partition_subalgoE9EiibEEZZNS1_14partition_implILS5_9ELb0ES3_jPKiN6thrust23THRUST_200600_302600_NS17counting_iteratorIiNSB_11use_defaultESD_SD_EEPNS0_10empty_typeENS0_5tupleIJPiSF_EEENSH_IJSI_SG_EEENS0_18inequality_wrapperIN6hipcub16HIPCUB_304000_NS8EqualityEEEPlJSF_EEE10hipError_tPvRmT3_T4_T5_T6_T7_T9_mT8_P12ihipStream_tbDpT10_ENKUlT_T0_E_clISt17integral_constantIbLb0EES1A_EEDaS15_S16_EUlS15_E_NS1_11comp_targetILNS1_3genE8ELNS1_11target_archE1030ELNS1_3gpuE2ELNS1_3repE0EEENS1_30default_config_static_selectorELNS0_4arch9wavefront6targetE1EEEvT1_ ; -- Begin function _ZN7rocprim17ROCPRIM_400000_NS6detail17trampoline_kernelINS0_14default_configENS1_25partition_config_selectorILNS1_17partition_subalgoE9EiibEEZZNS1_14partition_implILS5_9ELb0ES3_jPKiN6thrust23THRUST_200600_302600_NS17counting_iteratorIiNSB_11use_defaultESD_SD_EEPNS0_10empty_typeENS0_5tupleIJPiSF_EEENSH_IJSI_SG_EEENS0_18inequality_wrapperIN6hipcub16HIPCUB_304000_NS8EqualityEEEPlJSF_EEE10hipError_tPvRmT3_T4_T5_T6_T7_T9_mT8_P12ihipStream_tbDpT10_ENKUlT_T0_E_clISt17integral_constantIbLb0EES1A_EEDaS15_S16_EUlS15_E_NS1_11comp_targetILNS1_3genE8ELNS1_11target_archE1030ELNS1_3gpuE2ELNS1_3repE0EEENS1_30default_config_static_selectorELNS0_4arch9wavefront6targetE1EEEvT1_
	.globl	_ZN7rocprim17ROCPRIM_400000_NS6detail17trampoline_kernelINS0_14default_configENS1_25partition_config_selectorILNS1_17partition_subalgoE9EiibEEZZNS1_14partition_implILS5_9ELb0ES3_jPKiN6thrust23THRUST_200600_302600_NS17counting_iteratorIiNSB_11use_defaultESD_SD_EEPNS0_10empty_typeENS0_5tupleIJPiSF_EEENSH_IJSI_SG_EEENS0_18inequality_wrapperIN6hipcub16HIPCUB_304000_NS8EqualityEEEPlJSF_EEE10hipError_tPvRmT3_T4_T5_T6_T7_T9_mT8_P12ihipStream_tbDpT10_ENKUlT_T0_E_clISt17integral_constantIbLb0EES1A_EEDaS15_S16_EUlS15_E_NS1_11comp_targetILNS1_3genE8ELNS1_11target_archE1030ELNS1_3gpuE2ELNS1_3repE0EEENS1_30default_config_static_selectorELNS0_4arch9wavefront6targetE1EEEvT1_
	.p2align	8
	.type	_ZN7rocprim17ROCPRIM_400000_NS6detail17trampoline_kernelINS0_14default_configENS1_25partition_config_selectorILNS1_17partition_subalgoE9EiibEEZZNS1_14partition_implILS5_9ELb0ES3_jPKiN6thrust23THRUST_200600_302600_NS17counting_iteratorIiNSB_11use_defaultESD_SD_EEPNS0_10empty_typeENS0_5tupleIJPiSF_EEENSH_IJSI_SG_EEENS0_18inequality_wrapperIN6hipcub16HIPCUB_304000_NS8EqualityEEEPlJSF_EEE10hipError_tPvRmT3_T4_T5_T6_T7_T9_mT8_P12ihipStream_tbDpT10_ENKUlT_T0_E_clISt17integral_constantIbLb0EES1A_EEDaS15_S16_EUlS15_E_NS1_11comp_targetILNS1_3genE8ELNS1_11target_archE1030ELNS1_3gpuE2ELNS1_3repE0EEENS1_30default_config_static_selectorELNS0_4arch9wavefront6targetE1EEEvT1_,@function
_ZN7rocprim17ROCPRIM_400000_NS6detail17trampoline_kernelINS0_14default_configENS1_25partition_config_selectorILNS1_17partition_subalgoE9EiibEEZZNS1_14partition_implILS5_9ELb0ES3_jPKiN6thrust23THRUST_200600_302600_NS17counting_iteratorIiNSB_11use_defaultESD_SD_EEPNS0_10empty_typeENS0_5tupleIJPiSF_EEENSH_IJSI_SG_EEENS0_18inequality_wrapperIN6hipcub16HIPCUB_304000_NS8EqualityEEEPlJSF_EEE10hipError_tPvRmT3_T4_T5_T6_T7_T9_mT8_P12ihipStream_tbDpT10_ENKUlT_T0_E_clISt17integral_constantIbLb0EES1A_EEDaS15_S16_EUlS15_E_NS1_11comp_targetILNS1_3genE8ELNS1_11target_archE1030ELNS1_3gpuE2ELNS1_3repE0EEENS1_30default_config_static_selectorELNS0_4arch9wavefront6targetE1EEEvT1_: ; @_ZN7rocprim17ROCPRIM_400000_NS6detail17trampoline_kernelINS0_14default_configENS1_25partition_config_selectorILNS1_17partition_subalgoE9EiibEEZZNS1_14partition_implILS5_9ELb0ES3_jPKiN6thrust23THRUST_200600_302600_NS17counting_iteratorIiNSB_11use_defaultESD_SD_EEPNS0_10empty_typeENS0_5tupleIJPiSF_EEENSH_IJSI_SG_EEENS0_18inequality_wrapperIN6hipcub16HIPCUB_304000_NS8EqualityEEEPlJSF_EEE10hipError_tPvRmT3_T4_T5_T6_T7_T9_mT8_P12ihipStream_tbDpT10_ENKUlT_T0_E_clISt17integral_constantIbLb0EES1A_EEDaS15_S16_EUlS15_E_NS1_11comp_targetILNS1_3genE8ELNS1_11target_archE1030ELNS1_3gpuE2ELNS1_3repE0EEENS1_30default_config_static_selectorELNS0_4arch9wavefront6targetE1EEEvT1_
; %bb.0:
	.section	.rodata,"a",@progbits
	.p2align	6, 0x0
	.amdhsa_kernel _ZN7rocprim17ROCPRIM_400000_NS6detail17trampoline_kernelINS0_14default_configENS1_25partition_config_selectorILNS1_17partition_subalgoE9EiibEEZZNS1_14partition_implILS5_9ELb0ES3_jPKiN6thrust23THRUST_200600_302600_NS17counting_iteratorIiNSB_11use_defaultESD_SD_EEPNS0_10empty_typeENS0_5tupleIJPiSF_EEENSH_IJSI_SG_EEENS0_18inequality_wrapperIN6hipcub16HIPCUB_304000_NS8EqualityEEEPlJSF_EEE10hipError_tPvRmT3_T4_T5_T6_T7_T9_mT8_P12ihipStream_tbDpT10_ENKUlT_T0_E_clISt17integral_constantIbLb0EES1A_EEDaS15_S16_EUlS15_E_NS1_11comp_targetILNS1_3genE8ELNS1_11target_archE1030ELNS1_3gpuE2ELNS1_3repE0EEENS1_30default_config_static_selectorELNS0_4arch9wavefront6targetE1EEEvT1_
		.amdhsa_group_segment_fixed_size 0
		.amdhsa_private_segment_fixed_size 0
		.amdhsa_kernarg_size 112
		.amdhsa_user_sgpr_count 2
		.amdhsa_user_sgpr_dispatch_ptr 0
		.amdhsa_user_sgpr_queue_ptr 0
		.amdhsa_user_sgpr_kernarg_segment_ptr 1
		.amdhsa_user_sgpr_dispatch_id 0
		.amdhsa_user_sgpr_kernarg_preload_length 0
		.amdhsa_user_sgpr_kernarg_preload_offset 0
		.amdhsa_user_sgpr_private_segment_size 0
		.amdhsa_uses_dynamic_stack 0
		.amdhsa_enable_private_segment 0
		.amdhsa_system_sgpr_workgroup_id_x 1
		.amdhsa_system_sgpr_workgroup_id_y 0
		.amdhsa_system_sgpr_workgroup_id_z 0
		.amdhsa_system_sgpr_workgroup_info 0
		.amdhsa_system_vgpr_workitem_id 0
		.amdhsa_next_free_vgpr 1
		.amdhsa_next_free_sgpr 0
		.amdhsa_accum_offset 4
		.amdhsa_reserve_vcc 0
		.amdhsa_float_round_mode_32 0
		.amdhsa_float_round_mode_16_64 0
		.amdhsa_float_denorm_mode_32 3
		.amdhsa_float_denorm_mode_16_64 3
		.amdhsa_dx10_clamp 1
		.amdhsa_ieee_mode 1
		.amdhsa_fp16_overflow 0
		.amdhsa_tg_split 0
		.amdhsa_exception_fp_ieee_invalid_op 0
		.amdhsa_exception_fp_denorm_src 0
		.amdhsa_exception_fp_ieee_div_zero 0
		.amdhsa_exception_fp_ieee_overflow 0
		.amdhsa_exception_fp_ieee_underflow 0
		.amdhsa_exception_fp_ieee_inexact 0
		.amdhsa_exception_int_div_zero 0
	.end_amdhsa_kernel
	.section	.text._ZN7rocprim17ROCPRIM_400000_NS6detail17trampoline_kernelINS0_14default_configENS1_25partition_config_selectorILNS1_17partition_subalgoE9EiibEEZZNS1_14partition_implILS5_9ELb0ES3_jPKiN6thrust23THRUST_200600_302600_NS17counting_iteratorIiNSB_11use_defaultESD_SD_EEPNS0_10empty_typeENS0_5tupleIJPiSF_EEENSH_IJSI_SG_EEENS0_18inequality_wrapperIN6hipcub16HIPCUB_304000_NS8EqualityEEEPlJSF_EEE10hipError_tPvRmT3_T4_T5_T6_T7_T9_mT8_P12ihipStream_tbDpT10_ENKUlT_T0_E_clISt17integral_constantIbLb0EES1A_EEDaS15_S16_EUlS15_E_NS1_11comp_targetILNS1_3genE8ELNS1_11target_archE1030ELNS1_3gpuE2ELNS1_3repE0EEENS1_30default_config_static_selectorELNS0_4arch9wavefront6targetE1EEEvT1_,"axG",@progbits,_ZN7rocprim17ROCPRIM_400000_NS6detail17trampoline_kernelINS0_14default_configENS1_25partition_config_selectorILNS1_17partition_subalgoE9EiibEEZZNS1_14partition_implILS5_9ELb0ES3_jPKiN6thrust23THRUST_200600_302600_NS17counting_iteratorIiNSB_11use_defaultESD_SD_EEPNS0_10empty_typeENS0_5tupleIJPiSF_EEENSH_IJSI_SG_EEENS0_18inequality_wrapperIN6hipcub16HIPCUB_304000_NS8EqualityEEEPlJSF_EEE10hipError_tPvRmT3_T4_T5_T6_T7_T9_mT8_P12ihipStream_tbDpT10_ENKUlT_T0_E_clISt17integral_constantIbLb0EES1A_EEDaS15_S16_EUlS15_E_NS1_11comp_targetILNS1_3genE8ELNS1_11target_archE1030ELNS1_3gpuE2ELNS1_3repE0EEENS1_30default_config_static_selectorELNS0_4arch9wavefront6targetE1EEEvT1_,comdat
.Lfunc_end8:
	.size	_ZN7rocprim17ROCPRIM_400000_NS6detail17trampoline_kernelINS0_14default_configENS1_25partition_config_selectorILNS1_17partition_subalgoE9EiibEEZZNS1_14partition_implILS5_9ELb0ES3_jPKiN6thrust23THRUST_200600_302600_NS17counting_iteratorIiNSB_11use_defaultESD_SD_EEPNS0_10empty_typeENS0_5tupleIJPiSF_EEENSH_IJSI_SG_EEENS0_18inequality_wrapperIN6hipcub16HIPCUB_304000_NS8EqualityEEEPlJSF_EEE10hipError_tPvRmT3_T4_T5_T6_T7_T9_mT8_P12ihipStream_tbDpT10_ENKUlT_T0_E_clISt17integral_constantIbLb0EES1A_EEDaS15_S16_EUlS15_E_NS1_11comp_targetILNS1_3genE8ELNS1_11target_archE1030ELNS1_3gpuE2ELNS1_3repE0EEENS1_30default_config_static_selectorELNS0_4arch9wavefront6targetE1EEEvT1_, .Lfunc_end8-_ZN7rocprim17ROCPRIM_400000_NS6detail17trampoline_kernelINS0_14default_configENS1_25partition_config_selectorILNS1_17partition_subalgoE9EiibEEZZNS1_14partition_implILS5_9ELb0ES3_jPKiN6thrust23THRUST_200600_302600_NS17counting_iteratorIiNSB_11use_defaultESD_SD_EEPNS0_10empty_typeENS0_5tupleIJPiSF_EEENSH_IJSI_SG_EEENS0_18inequality_wrapperIN6hipcub16HIPCUB_304000_NS8EqualityEEEPlJSF_EEE10hipError_tPvRmT3_T4_T5_T6_T7_T9_mT8_P12ihipStream_tbDpT10_ENKUlT_T0_E_clISt17integral_constantIbLb0EES1A_EEDaS15_S16_EUlS15_E_NS1_11comp_targetILNS1_3genE8ELNS1_11target_archE1030ELNS1_3gpuE2ELNS1_3repE0EEENS1_30default_config_static_selectorELNS0_4arch9wavefront6targetE1EEEvT1_
                                        ; -- End function
	.section	.AMDGPU.csdata,"",@progbits
; Kernel info:
; codeLenInByte = 0
; NumSgprs: 6
; NumVgprs: 0
; NumAgprs: 0
; TotalNumVgprs: 0
; ScratchSize: 0
; MemoryBound: 0
; FloatMode: 240
; IeeeMode: 1
; LDSByteSize: 0 bytes/workgroup (compile time only)
; SGPRBlocks: 0
; VGPRBlocks: 0
; NumSGPRsForWavesPerEU: 6
; NumVGPRsForWavesPerEU: 1
; AccumOffset: 4
; Occupancy: 8
; WaveLimiterHint : 0
; COMPUTE_PGM_RSRC2:SCRATCH_EN: 0
; COMPUTE_PGM_RSRC2:USER_SGPR: 2
; COMPUTE_PGM_RSRC2:TRAP_HANDLER: 0
; COMPUTE_PGM_RSRC2:TGID_X_EN: 1
; COMPUTE_PGM_RSRC2:TGID_Y_EN: 0
; COMPUTE_PGM_RSRC2:TGID_Z_EN: 0
; COMPUTE_PGM_RSRC2:TIDIG_COMP_CNT: 0
; COMPUTE_PGM_RSRC3_GFX90A:ACCUM_OFFSET: 0
; COMPUTE_PGM_RSRC3_GFX90A:TG_SPLIT: 0
	.section	.text._ZN7rocprim17ROCPRIM_400000_NS6detail17trampoline_kernelINS0_14default_configENS1_25transform_config_selectorImLb1EEEZNS1_14transform_implILb1ES3_S5_PmPlNS0_8identityIvEEEE10hipError_tT2_T3_mT4_P12ihipStream_tbEUlT_E_NS1_11comp_targetILNS1_3genE0ELNS1_11target_archE4294967295ELNS1_3gpuE0ELNS1_3repE0EEENS1_30default_config_static_selectorELNS0_4arch9wavefront6targetE1EEEvT1_,"axG",@progbits,_ZN7rocprim17ROCPRIM_400000_NS6detail17trampoline_kernelINS0_14default_configENS1_25transform_config_selectorImLb1EEEZNS1_14transform_implILb1ES3_S5_PmPlNS0_8identityIvEEEE10hipError_tT2_T3_mT4_P12ihipStream_tbEUlT_E_NS1_11comp_targetILNS1_3genE0ELNS1_11target_archE4294967295ELNS1_3gpuE0ELNS1_3repE0EEENS1_30default_config_static_selectorELNS0_4arch9wavefront6targetE1EEEvT1_,comdat
	.protected	_ZN7rocprim17ROCPRIM_400000_NS6detail17trampoline_kernelINS0_14default_configENS1_25transform_config_selectorImLb1EEEZNS1_14transform_implILb1ES3_S5_PmPlNS0_8identityIvEEEE10hipError_tT2_T3_mT4_P12ihipStream_tbEUlT_E_NS1_11comp_targetILNS1_3genE0ELNS1_11target_archE4294967295ELNS1_3gpuE0ELNS1_3repE0EEENS1_30default_config_static_selectorELNS0_4arch9wavefront6targetE1EEEvT1_ ; -- Begin function _ZN7rocprim17ROCPRIM_400000_NS6detail17trampoline_kernelINS0_14default_configENS1_25transform_config_selectorImLb1EEEZNS1_14transform_implILb1ES3_S5_PmPlNS0_8identityIvEEEE10hipError_tT2_T3_mT4_P12ihipStream_tbEUlT_E_NS1_11comp_targetILNS1_3genE0ELNS1_11target_archE4294967295ELNS1_3gpuE0ELNS1_3repE0EEENS1_30default_config_static_selectorELNS0_4arch9wavefront6targetE1EEEvT1_
	.globl	_ZN7rocprim17ROCPRIM_400000_NS6detail17trampoline_kernelINS0_14default_configENS1_25transform_config_selectorImLb1EEEZNS1_14transform_implILb1ES3_S5_PmPlNS0_8identityIvEEEE10hipError_tT2_T3_mT4_P12ihipStream_tbEUlT_E_NS1_11comp_targetILNS1_3genE0ELNS1_11target_archE4294967295ELNS1_3gpuE0ELNS1_3repE0EEENS1_30default_config_static_selectorELNS0_4arch9wavefront6targetE1EEEvT1_
	.p2align	8
	.type	_ZN7rocprim17ROCPRIM_400000_NS6detail17trampoline_kernelINS0_14default_configENS1_25transform_config_selectorImLb1EEEZNS1_14transform_implILb1ES3_S5_PmPlNS0_8identityIvEEEE10hipError_tT2_T3_mT4_P12ihipStream_tbEUlT_E_NS1_11comp_targetILNS1_3genE0ELNS1_11target_archE4294967295ELNS1_3gpuE0ELNS1_3repE0EEENS1_30default_config_static_selectorELNS0_4arch9wavefront6targetE1EEEvT1_,@function
_ZN7rocprim17ROCPRIM_400000_NS6detail17trampoline_kernelINS0_14default_configENS1_25transform_config_selectorImLb1EEEZNS1_14transform_implILb1ES3_S5_PmPlNS0_8identityIvEEEE10hipError_tT2_T3_mT4_P12ihipStream_tbEUlT_E_NS1_11comp_targetILNS1_3genE0ELNS1_11target_archE4294967295ELNS1_3gpuE0ELNS1_3repE0EEENS1_30default_config_static_selectorELNS0_4arch9wavefront6targetE1EEEvT1_: ; @_ZN7rocprim17ROCPRIM_400000_NS6detail17trampoline_kernelINS0_14default_configENS1_25transform_config_selectorImLb1EEEZNS1_14transform_implILb1ES3_S5_PmPlNS0_8identityIvEEEE10hipError_tT2_T3_mT4_P12ihipStream_tbEUlT_E_NS1_11comp_targetILNS1_3genE0ELNS1_11target_archE4294967295ELNS1_3gpuE0ELNS1_3repE0EEENS1_30default_config_static_selectorELNS0_4arch9wavefront6targetE1EEEvT1_
; %bb.0:
	.section	.rodata,"a",@progbits
	.p2align	6, 0x0
	.amdhsa_kernel _ZN7rocprim17ROCPRIM_400000_NS6detail17trampoline_kernelINS0_14default_configENS1_25transform_config_selectorImLb1EEEZNS1_14transform_implILb1ES3_S5_PmPlNS0_8identityIvEEEE10hipError_tT2_T3_mT4_P12ihipStream_tbEUlT_E_NS1_11comp_targetILNS1_3genE0ELNS1_11target_archE4294967295ELNS1_3gpuE0ELNS1_3repE0EEENS1_30default_config_static_selectorELNS0_4arch9wavefront6targetE1EEEvT1_
		.amdhsa_group_segment_fixed_size 0
		.amdhsa_private_segment_fixed_size 0
		.amdhsa_kernarg_size 40
		.amdhsa_user_sgpr_count 2
		.amdhsa_user_sgpr_dispatch_ptr 0
		.amdhsa_user_sgpr_queue_ptr 0
		.amdhsa_user_sgpr_kernarg_segment_ptr 1
		.amdhsa_user_sgpr_dispatch_id 0
		.amdhsa_user_sgpr_kernarg_preload_length 0
		.amdhsa_user_sgpr_kernarg_preload_offset 0
		.amdhsa_user_sgpr_private_segment_size 0
		.amdhsa_uses_dynamic_stack 0
		.amdhsa_enable_private_segment 0
		.amdhsa_system_sgpr_workgroup_id_x 1
		.amdhsa_system_sgpr_workgroup_id_y 0
		.amdhsa_system_sgpr_workgroup_id_z 0
		.amdhsa_system_sgpr_workgroup_info 0
		.amdhsa_system_vgpr_workitem_id 0
		.amdhsa_next_free_vgpr 1
		.amdhsa_next_free_sgpr 0
		.amdhsa_accum_offset 4
		.amdhsa_reserve_vcc 0
		.amdhsa_float_round_mode_32 0
		.amdhsa_float_round_mode_16_64 0
		.amdhsa_float_denorm_mode_32 3
		.amdhsa_float_denorm_mode_16_64 3
		.amdhsa_dx10_clamp 1
		.amdhsa_ieee_mode 1
		.amdhsa_fp16_overflow 0
		.amdhsa_tg_split 0
		.amdhsa_exception_fp_ieee_invalid_op 0
		.amdhsa_exception_fp_denorm_src 0
		.amdhsa_exception_fp_ieee_div_zero 0
		.amdhsa_exception_fp_ieee_overflow 0
		.amdhsa_exception_fp_ieee_underflow 0
		.amdhsa_exception_fp_ieee_inexact 0
		.amdhsa_exception_int_div_zero 0
	.end_amdhsa_kernel
	.section	.text._ZN7rocprim17ROCPRIM_400000_NS6detail17trampoline_kernelINS0_14default_configENS1_25transform_config_selectorImLb1EEEZNS1_14transform_implILb1ES3_S5_PmPlNS0_8identityIvEEEE10hipError_tT2_T3_mT4_P12ihipStream_tbEUlT_E_NS1_11comp_targetILNS1_3genE0ELNS1_11target_archE4294967295ELNS1_3gpuE0ELNS1_3repE0EEENS1_30default_config_static_selectorELNS0_4arch9wavefront6targetE1EEEvT1_,"axG",@progbits,_ZN7rocprim17ROCPRIM_400000_NS6detail17trampoline_kernelINS0_14default_configENS1_25transform_config_selectorImLb1EEEZNS1_14transform_implILb1ES3_S5_PmPlNS0_8identityIvEEEE10hipError_tT2_T3_mT4_P12ihipStream_tbEUlT_E_NS1_11comp_targetILNS1_3genE0ELNS1_11target_archE4294967295ELNS1_3gpuE0ELNS1_3repE0EEENS1_30default_config_static_selectorELNS0_4arch9wavefront6targetE1EEEvT1_,comdat
.Lfunc_end9:
	.size	_ZN7rocprim17ROCPRIM_400000_NS6detail17trampoline_kernelINS0_14default_configENS1_25transform_config_selectorImLb1EEEZNS1_14transform_implILb1ES3_S5_PmPlNS0_8identityIvEEEE10hipError_tT2_T3_mT4_P12ihipStream_tbEUlT_E_NS1_11comp_targetILNS1_3genE0ELNS1_11target_archE4294967295ELNS1_3gpuE0ELNS1_3repE0EEENS1_30default_config_static_selectorELNS0_4arch9wavefront6targetE1EEEvT1_, .Lfunc_end9-_ZN7rocprim17ROCPRIM_400000_NS6detail17trampoline_kernelINS0_14default_configENS1_25transform_config_selectorImLb1EEEZNS1_14transform_implILb1ES3_S5_PmPlNS0_8identityIvEEEE10hipError_tT2_T3_mT4_P12ihipStream_tbEUlT_E_NS1_11comp_targetILNS1_3genE0ELNS1_11target_archE4294967295ELNS1_3gpuE0ELNS1_3repE0EEENS1_30default_config_static_selectorELNS0_4arch9wavefront6targetE1EEEvT1_
                                        ; -- End function
	.section	.AMDGPU.csdata,"",@progbits
; Kernel info:
; codeLenInByte = 0
; NumSgprs: 6
; NumVgprs: 0
; NumAgprs: 0
; TotalNumVgprs: 0
; ScratchSize: 0
; MemoryBound: 0
; FloatMode: 240
; IeeeMode: 1
; LDSByteSize: 0 bytes/workgroup (compile time only)
; SGPRBlocks: 0
; VGPRBlocks: 0
; NumSGPRsForWavesPerEU: 6
; NumVGPRsForWavesPerEU: 1
; AccumOffset: 4
; Occupancy: 8
; WaveLimiterHint : 0
; COMPUTE_PGM_RSRC2:SCRATCH_EN: 0
; COMPUTE_PGM_RSRC2:USER_SGPR: 2
; COMPUTE_PGM_RSRC2:TRAP_HANDLER: 0
; COMPUTE_PGM_RSRC2:TGID_X_EN: 1
; COMPUTE_PGM_RSRC2:TGID_Y_EN: 0
; COMPUTE_PGM_RSRC2:TGID_Z_EN: 0
; COMPUTE_PGM_RSRC2:TIDIG_COMP_CNT: 0
; COMPUTE_PGM_RSRC3_GFX90A:ACCUM_OFFSET: 0
; COMPUTE_PGM_RSRC3_GFX90A:TG_SPLIT: 0
	.section	.text._ZN7rocprim17ROCPRIM_400000_NS6detail17trampoline_kernelINS0_14default_configENS1_25transform_config_selectorImLb1EEEZNS1_14transform_implILb1ES3_S5_PmPlNS0_8identityIvEEEE10hipError_tT2_T3_mT4_P12ihipStream_tbEUlT_E_NS1_11comp_targetILNS1_3genE10ELNS1_11target_archE1201ELNS1_3gpuE5ELNS1_3repE0EEENS1_30default_config_static_selectorELNS0_4arch9wavefront6targetE1EEEvT1_,"axG",@progbits,_ZN7rocprim17ROCPRIM_400000_NS6detail17trampoline_kernelINS0_14default_configENS1_25transform_config_selectorImLb1EEEZNS1_14transform_implILb1ES3_S5_PmPlNS0_8identityIvEEEE10hipError_tT2_T3_mT4_P12ihipStream_tbEUlT_E_NS1_11comp_targetILNS1_3genE10ELNS1_11target_archE1201ELNS1_3gpuE5ELNS1_3repE0EEENS1_30default_config_static_selectorELNS0_4arch9wavefront6targetE1EEEvT1_,comdat
	.protected	_ZN7rocprim17ROCPRIM_400000_NS6detail17trampoline_kernelINS0_14default_configENS1_25transform_config_selectorImLb1EEEZNS1_14transform_implILb1ES3_S5_PmPlNS0_8identityIvEEEE10hipError_tT2_T3_mT4_P12ihipStream_tbEUlT_E_NS1_11comp_targetILNS1_3genE10ELNS1_11target_archE1201ELNS1_3gpuE5ELNS1_3repE0EEENS1_30default_config_static_selectorELNS0_4arch9wavefront6targetE1EEEvT1_ ; -- Begin function _ZN7rocprim17ROCPRIM_400000_NS6detail17trampoline_kernelINS0_14default_configENS1_25transform_config_selectorImLb1EEEZNS1_14transform_implILb1ES3_S5_PmPlNS0_8identityIvEEEE10hipError_tT2_T3_mT4_P12ihipStream_tbEUlT_E_NS1_11comp_targetILNS1_3genE10ELNS1_11target_archE1201ELNS1_3gpuE5ELNS1_3repE0EEENS1_30default_config_static_selectorELNS0_4arch9wavefront6targetE1EEEvT1_
	.globl	_ZN7rocprim17ROCPRIM_400000_NS6detail17trampoline_kernelINS0_14default_configENS1_25transform_config_selectorImLb1EEEZNS1_14transform_implILb1ES3_S5_PmPlNS0_8identityIvEEEE10hipError_tT2_T3_mT4_P12ihipStream_tbEUlT_E_NS1_11comp_targetILNS1_3genE10ELNS1_11target_archE1201ELNS1_3gpuE5ELNS1_3repE0EEENS1_30default_config_static_selectorELNS0_4arch9wavefront6targetE1EEEvT1_
	.p2align	8
	.type	_ZN7rocprim17ROCPRIM_400000_NS6detail17trampoline_kernelINS0_14default_configENS1_25transform_config_selectorImLb1EEEZNS1_14transform_implILb1ES3_S5_PmPlNS0_8identityIvEEEE10hipError_tT2_T3_mT4_P12ihipStream_tbEUlT_E_NS1_11comp_targetILNS1_3genE10ELNS1_11target_archE1201ELNS1_3gpuE5ELNS1_3repE0EEENS1_30default_config_static_selectorELNS0_4arch9wavefront6targetE1EEEvT1_,@function
_ZN7rocprim17ROCPRIM_400000_NS6detail17trampoline_kernelINS0_14default_configENS1_25transform_config_selectorImLb1EEEZNS1_14transform_implILb1ES3_S5_PmPlNS0_8identityIvEEEE10hipError_tT2_T3_mT4_P12ihipStream_tbEUlT_E_NS1_11comp_targetILNS1_3genE10ELNS1_11target_archE1201ELNS1_3gpuE5ELNS1_3repE0EEENS1_30default_config_static_selectorELNS0_4arch9wavefront6targetE1EEEvT1_: ; @_ZN7rocprim17ROCPRIM_400000_NS6detail17trampoline_kernelINS0_14default_configENS1_25transform_config_selectorImLb1EEEZNS1_14transform_implILb1ES3_S5_PmPlNS0_8identityIvEEEE10hipError_tT2_T3_mT4_P12ihipStream_tbEUlT_E_NS1_11comp_targetILNS1_3genE10ELNS1_11target_archE1201ELNS1_3gpuE5ELNS1_3repE0EEENS1_30default_config_static_selectorELNS0_4arch9wavefront6targetE1EEEvT1_
; %bb.0:
	.section	.rodata,"a",@progbits
	.p2align	6, 0x0
	.amdhsa_kernel _ZN7rocprim17ROCPRIM_400000_NS6detail17trampoline_kernelINS0_14default_configENS1_25transform_config_selectorImLb1EEEZNS1_14transform_implILb1ES3_S5_PmPlNS0_8identityIvEEEE10hipError_tT2_T3_mT4_P12ihipStream_tbEUlT_E_NS1_11comp_targetILNS1_3genE10ELNS1_11target_archE1201ELNS1_3gpuE5ELNS1_3repE0EEENS1_30default_config_static_selectorELNS0_4arch9wavefront6targetE1EEEvT1_
		.amdhsa_group_segment_fixed_size 0
		.amdhsa_private_segment_fixed_size 0
		.amdhsa_kernarg_size 40
		.amdhsa_user_sgpr_count 2
		.amdhsa_user_sgpr_dispatch_ptr 0
		.amdhsa_user_sgpr_queue_ptr 0
		.amdhsa_user_sgpr_kernarg_segment_ptr 1
		.amdhsa_user_sgpr_dispatch_id 0
		.amdhsa_user_sgpr_kernarg_preload_length 0
		.amdhsa_user_sgpr_kernarg_preload_offset 0
		.amdhsa_user_sgpr_private_segment_size 0
		.amdhsa_uses_dynamic_stack 0
		.amdhsa_enable_private_segment 0
		.amdhsa_system_sgpr_workgroup_id_x 1
		.amdhsa_system_sgpr_workgroup_id_y 0
		.amdhsa_system_sgpr_workgroup_id_z 0
		.amdhsa_system_sgpr_workgroup_info 0
		.amdhsa_system_vgpr_workitem_id 0
		.amdhsa_next_free_vgpr 1
		.amdhsa_next_free_sgpr 0
		.amdhsa_accum_offset 4
		.amdhsa_reserve_vcc 0
		.amdhsa_float_round_mode_32 0
		.amdhsa_float_round_mode_16_64 0
		.amdhsa_float_denorm_mode_32 3
		.amdhsa_float_denorm_mode_16_64 3
		.amdhsa_dx10_clamp 1
		.amdhsa_ieee_mode 1
		.amdhsa_fp16_overflow 0
		.amdhsa_tg_split 0
		.amdhsa_exception_fp_ieee_invalid_op 0
		.amdhsa_exception_fp_denorm_src 0
		.amdhsa_exception_fp_ieee_div_zero 0
		.amdhsa_exception_fp_ieee_overflow 0
		.amdhsa_exception_fp_ieee_underflow 0
		.amdhsa_exception_fp_ieee_inexact 0
		.amdhsa_exception_int_div_zero 0
	.end_amdhsa_kernel
	.section	.text._ZN7rocprim17ROCPRIM_400000_NS6detail17trampoline_kernelINS0_14default_configENS1_25transform_config_selectorImLb1EEEZNS1_14transform_implILb1ES3_S5_PmPlNS0_8identityIvEEEE10hipError_tT2_T3_mT4_P12ihipStream_tbEUlT_E_NS1_11comp_targetILNS1_3genE10ELNS1_11target_archE1201ELNS1_3gpuE5ELNS1_3repE0EEENS1_30default_config_static_selectorELNS0_4arch9wavefront6targetE1EEEvT1_,"axG",@progbits,_ZN7rocprim17ROCPRIM_400000_NS6detail17trampoline_kernelINS0_14default_configENS1_25transform_config_selectorImLb1EEEZNS1_14transform_implILb1ES3_S5_PmPlNS0_8identityIvEEEE10hipError_tT2_T3_mT4_P12ihipStream_tbEUlT_E_NS1_11comp_targetILNS1_3genE10ELNS1_11target_archE1201ELNS1_3gpuE5ELNS1_3repE0EEENS1_30default_config_static_selectorELNS0_4arch9wavefront6targetE1EEEvT1_,comdat
.Lfunc_end10:
	.size	_ZN7rocprim17ROCPRIM_400000_NS6detail17trampoline_kernelINS0_14default_configENS1_25transform_config_selectorImLb1EEEZNS1_14transform_implILb1ES3_S5_PmPlNS0_8identityIvEEEE10hipError_tT2_T3_mT4_P12ihipStream_tbEUlT_E_NS1_11comp_targetILNS1_3genE10ELNS1_11target_archE1201ELNS1_3gpuE5ELNS1_3repE0EEENS1_30default_config_static_selectorELNS0_4arch9wavefront6targetE1EEEvT1_, .Lfunc_end10-_ZN7rocprim17ROCPRIM_400000_NS6detail17trampoline_kernelINS0_14default_configENS1_25transform_config_selectorImLb1EEEZNS1_14transform_implILb1ES3_S5_PmPlNS0_8identityIvEEEE10hipError_tT2_T3_mT4_P12ihipStream_tbEUlT_E_NS1_11comp_targetILNS1_3genE10ELNS1_11target_archE1201ELNS1_3gpuE5ELNS1_3repE0EEENS1_30default_config_static_selectorELNS0_4arch9wavefront6targetE1EEEvT1_
                                        ; -- End function
	.section	.AMDGPU.csdata,"",@progbits
; Kernel info:
; codeLenInByte = 0
; NumSgprs: 6
; NumVgprs: 0
; NumAgprs: 0
; TotalNumVgprs: 0
; ScratchSize: 0
; MemoryBound: 0
; FloatMode: 240
; IeeeMode: 1
; LDSByteSize: 0 bytes/workgroup (compile time only)
; SGPRBlocks: 0
; VGPRBlocks: 0
; NumSGPRsForWavesPerEU: 6
; NumVGPRsForWavesPerEU: 1
; AccumOffset: 4
; Occupancy: 8
; WaveLimiterHint : 0
; COMPUTE_PGM_RSRC2:SCRATCH_EN: 0
; COMPUTE_PGM_RSRC2:USER_SGPR: 2
; COMPUTE_PGM_RSRC2:TRAP_HANDLER: 0
; COMPUTE_PGM_RSRC2:TGID_X_EN: 1
; COMPUTE_PGM_RSRC2:TGID_Y_EN: 0
; COMPUTE_PGM_RSRC2:TGID_Z_EN: 0
; COMPUTE_PGM_RSRC2:TIDIG_COMP_CNT: 0
; COMPUTE_PGM_RSRC3_GFX90A:ACCUM_OFFSET: 0
; COMPUTE_PGM_RSRC3_GFX90A:TG_SPLIT: 0
	.section	.text._ZN7rocprim17ROCPRIM_400000_NS6detail17trampoline_kernelINS0_14default_configENS1_25transform_config_selectorImLb1EEEZNS1_14transform_implILb1ES3_S5_PmPlNS0_8identityIvEEEE10hipError_tT2_T3_mT4_P12ihipStream_tbEUlT_E_NS1_11comp_targetILNS1_3genE5ELNS1_11target_archE942ELNS1_3gpuE9ELNS1_3repE0EEENS1_30default_config_static_selectorELNS0_4arch9wavefront6targetE1EEEvT1_,"axG",@progbits,_ZN7rocprim17ROCPRIM_400000_NS6detail17trampoline_kernelINS0_14default_configENS1_25transform_config_selectorImLb1EEEZNS1_14transform_implILb1ES3_S5_PmPlNS0_8identityIvEEEE10hipError_tT2_T3_mT4_P12ihipStream_tbEUlT_E_NS1_11comp_targetILNS1_3genE5ELNS1_11target_archE942ELNS1_3gpuE9ELNS1_3repE0EEENS1_30default_config_static_selectorELNS0_4arch9wavefront6targetE1EEEvT1_,comdat
	.protected	_ZN7rocprim17ROCPRIM_400000_NS6detail17trampoline_kernelINS0_14default_configENS1_25transform_config_selectorImLb1EEEZNS1_14transform_implILb1ES3_S5_PmPlNS0_8identityIvEEEE10hipError_tT2_T3_mT4_P12ihipStream_tbEUlT_E_NS1_11comp_targetILNS1_3genE5ELNS1_11target_archE942ELNS1_3gpuE9ELNS1_3repE0EEENS1_30default_config_static_selectorELNS0_4arch9wavefront6targetE1EEEvT1_ ; -- Begin function _ZN7rocprim17ROCPRIM_400000_NS6detail17trampoline_kernelINS0_14default_configENS1_25transform_config_selectorImLb1EEEZNS1_14transform_implILb1ES3_S5_PmPlNS0_8identityIvEEEE10hipError_tT2_T3_mT4_P12ihipStream_tbEUlT_E_NS1_11comp_targetILNS1_3genE5ELNS1_11target_archE942ELNS1_3gpuE9ELNS1_3repE0EEENS1_30default_config_static_selectorELNS0_4arch9wavefront6targetE1EEEvT1_
	.globl	_ZN7rocprim17ROCPRIM_400000_NS6detail17trampoline_kernelINS0_14default_configENS1_25transform_config_selectorImLb1EEEZNS1_14transform_implILb1ES3_S5_PmPlNS0_8identityIvEEEE10hipError_tT2_T3_mT4_P12ihipStream_tbEUlT_E_NS1_11comp_targetILNS1_3genE5ELNS1_11target_archE942ELNS1_3gpuE9ELNS1_3repE0EEENS1_30default_config_static_selectorELNS0_4arch9wavefront6targetE1EEEvT1_
	.p2align	8
	.type	_ZN7rocprim17ROCPRIM_400000_NS6detail17trampoline_kernelINS0_14default_configENS1_25transform_config_selectorImLb1EEEZNS1_14transform_implILb1ES3_S5_PmPlNS0_8identityIvEEEE10hipError_tT2_T3_mT4_P12ihipStream_tbEUlT_E_NS1_11comp_targetILNS1_3genE5ELNS1_11target_archE942ELNS1_3gpuE9ELNS1_3repE0EEENS1_30default_config_static_selectorELNS0_4arch9wavefront6targetE1EEEvT1_,@function
_ZN7rocprim17ROCPRIM_400000_NS6detail17trampoline_kernelINS0_14default_configENS1_25transform_config_selectorImLb1EEEZNS1_14transform_implILb1ES3_S5_PmPlNS0_8identityIvEEEE10hipError_tT2_T3_mT4_P12ihipStream_tbEUlT_E_NS1_11comp_targetILNS1_3genE5ELNS1_11target_archE942ELNS1_3gpuE9ELNS1_3repE0EEENS1_30default_config_static_selectorELNS0_4arch9wavefront6targetE1EEEvT1_: ; @_ZN7rocprim17ROCPRIM_400000_NS6detail17trampoline_kernelINS0_14default_configENS1_25transform_config_selectorImLb1EEEZNS1_14transform_implILb1ES3_S5_PmPlNS0_8identityIvEEEE10hipError_tT2_T3_mT4_P12ihipStream_tbEUlT_E_NS1_11comp_targetILNS1_3genE5ELNS1_11target_archE942ELNS1_3gpuE9ELNS1_3repE0EEENS1_30default_config_static_selectorELNS0_4arch9wavefront6targetE1EEEvT1_
; %bb.0:
	s_load_dwordx8 s[4:11], s[0:1], 0x0
	s_load_dword s3, s[0:1], 0x28
	s_waitcnt lgkmcnt(0)
	s_lshl_b64 s[0:1], s[6:7], 3
	s_add_u32 s6, s4, s0
	s_addc_u32 s7, s5, s1
	s_add_u32 s9, s10, s0
	s_addc_u32 s10, s11, s1
	s_lshl_b32 s0, s2, 10
	s_mov_b32 s1, 0
	s_add_i32 s3, s3, -1
	s_lshl_b64 s[4:5], s[0:1], 3
	s_add_u32 s6, s6, s4
	s_addc_u32 s7, s7, s5
	s_cmp_lg_u32 s2, s3
	s_mov_b64 s[2:3], -1
	s_cbranch_scc0 .LBB11_2
; %bb.1:
	v_lshlrev_b32_e32 v1, 4, v0
	global_load_dwordx4 v[2:5], v1, s[6:7] nt
	s_add_u32 s2, s9, s4
	s_addc_u32 s3, s10, s5
	s_waitcnt vmcnt(0)
	global_store_dwordx4 v1, v[2:5], s[2:3]
	s_mov_b64 s[2:3], 0
.LBB11_2:
	s_andn2_b64 vcc, exec, s[2:3]
	s_cbranch_vccnz .LBB11_11
; %bb.3:
	s_sub_i32 s2, s8, s0
	v_cmp_gt_u32_e32 vcc, s2, v0
	v_lshlrev_b32_e32 v6, 3, v0
                                        ; implicit-def: $vgpr2_vgpr3_vgpr4_vgpr5
	s_and_saveexec_b64 s[0:1], vcc
	s_cbranch_execz .LBB11_5
; %bb.4:
	global_load_dwordx2 v[2:3], v6, s[6:7]
.LBB11_5:
	s_or_b64 exec, exec, s[0:1]
	v_or_b32_e32 v0, 0x200, v0
	v_cmp_gt_u32_e64 s[0:1], s2, v0
	s_and_saveexec_b64 s[2:3], s[0:1]
	s_cbranch_execz .LBB11_7
; %bb.6:
	v_lshlrev_b32_e32 v0, 3, v0
	global_load_dwordx2 v[4:5], v0, s[6:7]
.LBB11_7:
	s_or_b64 exec, exec, s[2:3]
	s_add_u32 s2, s9, s4
	s_addc_u32 s3, s10, s5
	v_mov_b32_e32 v7, 0
	v_lshl_add_u64 v[0:1], s[2:3], 0, v[6:7]
	s_and_saveexec_b64 s[2:3], vcc
	s_cbranch_execz .LBB11_9
; %bb.8:
	s_waitcnt vmcnt(0)
	global_store_dwordx2 v[0:1], v[2:3], off
.LBB11_9:
	s_or_b64 exec, exec, s[2:3]
	s_and_saveexec_b64 s[2:3], s[0:1]
	s_cbranch_execz .LBB11_11
; %bb.10:
	v_add_co_u32_e32 v0, vcc, 0x1000, v0
	s_nop 1
	v_addc_co_u32_e32 v1, vcc, 0, v1, vcc
	s_waitcnt vmcnt(0)
	global_store_dwordx2 v[0:1], v[4:5], off
.LBB11_11:
	s_endpgm
	.section	.rodata,"a",@progbits
	.p2align	6, 0x0
	.amdhsa_kernel _ZN7rocprim17ROCPRIM_400000_NS6detail17trampoline_kernelINS0_14default_configENS1_25transform_config_selectorImLb1EEEZNS1_14transform_implILb1ES3_S5_PmPlNS0_8identityIvEEEE10hipError_tT2_T3_mT4_P12ihipStream_tbEUlT_E_NS1_11comp_targetILNS1_3genE5ELNS1_11target_archE942ELNS1_3gpuE9ELNS1_3repE0EEENS1_30default_config_static_selectorELNS0_4arch9wavefront6targetE1EEEvT1_
		.amdhsa_group_segment_fixed_size 0
		.amdhsa_private_segment_fixed_size 0
		.amdhsa_kernarg_size 296
		.amdhsa_user_sgpr_count 2
		.amdhsa_user_sgpr_dispatch_ptr 0
		.amdhsa_user_sgpr_queue_ptr 0
		.amdhsa_user_sgpr_kernarg_segment_ptr 1
		.amdhsa_user_sgpr_dispatch_id 0
		.amdhsa_user_sgpr_kernarg_preload_length 0
		.amdhsa_user_sgpr_kernarg_preload_offset 0
		.amdhsa_user_sgpr_private_segment_size 0
		.amdhsa_uses_dynamic_stack 0
		.amdhsa_enable_private_segment 0
		.amdhsa_system_sgpr_workgroup_id_x 1
		.amdhsa_system_sgpr_workgroup_id_y 0
		.amdhsa_system_sgpr_workgroup_id_z 0
		.amdhsa_system_sgpr_workgroup_info 0
		.amdhsa_system_vgpr_workitem_id 0
		.amdhsa_next_free_vgpr 8
		.amdhsa_next_free_sgpr 12
		.amdhsa_accum_offset 8
		.amdhsa_reserve_vcc 1
		.amdhsa_float_round_mode_32 0
		.amdhsa_float_round_mode_16_64 0
		.amdhsa_float_denorm_mode_32 3
		.amdhsa_float_denorm_mode_16_64 3
		.amdhsa_dx10_clamp 1
		.amdhsa_ieee_mode 1
		.amdhsa_fp16_overflow 0
		.amdhsa_tg_split 0
		.amdhsa_exception_fp_ieee_invalid_op 0
		.amdhsa_exception_fp_denorm_src 0
		.amdhsa_exception_fp_ieee_div_zero 0
		.amdhsa_exception_fp_ieee_overflow 0
		.amdhsa_exception_fp_ieee_underflow 0
		.amdhsa_exception_fp_ieee_inexact 0
		.amdhsa_exception_int_div_zero 0
	.end_amdhsa_kernel
	.section	.text._ZN7rocprim17ROCPRIM_400000_NS6detail17trampoline_kernelINS0_14default_configENS1_25transform_config_selectorImLb1EEEZNS1_14transform_implILb1ES3_S5_PmPlNS0_8identityIvEEEE10hipError_tT2_T3_mT4_P12ihipStream_tbEUlT_E_NS1_11comp_targetILNS1_3genE5ELNS1_11target_archE942ELNS1_3gpuE9ELNS1_3repE0EEENS1_30default_config_static_selectorELNS0_4arch9wavefront6targetE1EEEvT1_,"axG",@progbits,_ZN7rocprim17ROCPRIM_400000_NS6detail17trampoline_kernelINS0_14default_configENS1_25transform_config_selectorImLb1EEEZNS1_14transform_implILb1ES3_S5_PmPlNS0_8identityIvEEEE10hipError_tT2_T3_mT4_P12ihipStream_tbEUlT_E_NS1_11comp_targetILNS1_3genE5ELNS1_11target_archE942ELNS1_3gpuE9ELNS1_3repE0EEENS1_30default_config_static_selectorELNS0_4arch9wavefront6targetE1EEEvT1_,comdat
.Lfunc_end11:
	.size	_ZN7rocprim17ROCPRIM_400000_NS6detail17trampoline_kernelINS0_14default_configENS1_25transform_config_selectorImLb1EEEZNS1_14transform_implILb1ES3_S5_PmPlNS0_8identityIvEEEE10hipError_tT2_T3_mT4_P12ihipStream_tbEUlT_E_NS1_11comp_targetILNS1_3genE5ELNS1_11target_archE942ELNS1_3gpuE9ELNS1_3repE0EEENS1_30default_config_static_selectorELNS0_4arch9wavefront6targetE1EEEvT1_, .Lfunc_end11-_ZN7rocprim17ROCPRIM_400000_NS6detail17trampoline_kernelINS0_14default_configENS1_25transform_config_selectorImLb1EEEZNS1_14transform_implILb1ES3_S5_PmPlNS0_8identityIvEEEE10hipError_tT2_T3_mT4_P12ihipStream_tbEUlT_E_NS1_11comp_targetILNS1_3genE5ELNS1_11target_archE942ELNS1_3gpuE9ELNS1_3repE0EEENS1_30default_config_static_selectorELNS0_4arch9wavefront6targetE1EEEvT1_
                                        ; -- End function
	.section	.AMDGPU.csdata,"",@progbits
; Kernel info:
; codeLenInByte = 276
; NumSgprs: 18
; NumVgprs: 8
; NumAgprs: 0
; TotalNumVgprs: 8
; ScratchSize: 0
; MemoryBound: 1
; FloatMode: 240
; IeeeMode: 1
; LDSByteSize: 0 bytes/workgroup (compile time only)
; SGPRBlocks: 2
; VGPRBlocks: 0
; NumSGPRsForWavesPerEU: 18
; NumVGPRsForWavesPerEU: 8
; AccumOffset: 8
; Occupancy: 8
; WaveLimiterHint : 0
; COMPUTE_PGM_RSRC2:SCRATCH_EN: 0
; COMPUTE_PGM_RSRC2:USER_SGPR: 2
; COMPUTE_PGM_RSRC2:TRAP_HANDLER: 0
; COMPUTE_PGM_RSRC2:TGID_X_EN: 1
; COMPUTE_PGM_RSRC2:TGID_Y_EN: 0
; COMPUTE_PGM_RSRC2:TGID_Z_EN: 0
; COMPUTE_PGM_RSRC2:TIDIG_COMP_CNT: 0
; COMPUTE_PGM_RSRC3_GFX90A:ACCUM_OFFSET: 1
; COMPUTE_PGM_RSRC3_GFX90A:TG_SPLIT: 0
	.section	.text._ZN7rocprim17ROCPRIM_400000_NS6detail17trampoline_kernelINS0_14default_configENS1_25transform_config_selectorImLb1EEEZNS1_14transform_implILb1ES3_S5_PmPlNS0_8identityIvEEEE10hipError_tT2_T3_mT4_P12ihipStream_tbEUlT_E_NS1_11comp_targetILNS1_3genE4ELNS1_11target_archE910ELNS1_3gpuE8ELNS1_3repE0EEENS1_30default_config_static_selectorELNS0_4arch9wavefront6targetE1EEEvT1_,"axG",@progbits,_ZN7rocprim17ROCPRIM_400000_NS6detail17trampoline_kernelINS0_14default_configENS1_25transform_config_selectorImLb1EEEZNS1_14transform_implILb1ES3_S5_PmPlNS0_8identityIvEEEE10hipError_tT2_T3_mT4_P12ihipStream_tbEUlT_E_NS1_11comp_targetILNS1_3genE4ELNS1_11target_archE910ELNS1_3gpuE8ELNS1_3repE0EEENS1_30default_config_static_selectorELNS0_4arch9wavefront6targetE1EEEvT1_,comdat
	.protected	_ZN7rocprim17ROCPRIM_400000_NS6detail17trampoline_kernelINS0_14default_configENS1_25transform_config_selectorImLb1EEEZNS1_14transform_implILb1ES3_S5_PmPlNS0_8identityIvEEEE10hipError_tT2_T3_mT4_P12ihipStream_tbEUlT_E_NS1_11comp_targetILNS1_3genE4ELNS1_11target_archE910ELNS1_3gpuE8ELNS1_3repE0EEENS1_30default_config_static_selectorELNS0_4arch9wavefront6targetE1EEEvT1_ ; -- Begin function _ZN7rocprim17ROCPRIM_400000_NS6detail17trampoline_kernelINS0_14default_configENS1_25transform_config_selectorImLb1EEEZNS1_14transform_implILb1ES3_S5_PmPlNS0_8identityIvEEEE10hipError_tT2_T3_mT4_P12ihipStream_tbEUlT_E_NS1_11comp_targetILNS1_3genE4ELNS1_11target_archE910ELNS1_3gpuE8ELNS1_3repE0EEENS1_30default_config_static_selectorELNS0_4arch9wavefront6targetE1EEEvT1_
	.globl	_ZN7rocprim17ROCPRIM_400000_NS6detail17trampoline_kernelINS0_14default_configENS1_25transform_config_selectorImLb1EEEZNS1_14transform_implILb1ES3_S5_PmPlNS0_8identityIvEEEE10hipError_tT2_T3_mT4_P12ihipStream_tbEUlT_E_NS1_11comp_targetILNS1_3genE4ELNS1_11target_archE910ELNS1_3gpuE8ELNS1_3repE0EEENS1_30default_config_static_selectorELNS0_4arch9wavefront6targetE1EEEvT1_
	.p2align	8
	.type	_ZN7rocprim17ROCPRIM_400000_NS6detail17trampoline_kernelINS0_14default_configENS1_25transform_config_selectorImLb1EEEZNS1_14transform_implILb1ES3_S5_PmPlNS0_8identityIvEEEE10hipError_tT2_T3_mT4_P12ihipStream_tbEUlT_E_NS1_11comp_targetILNS1_3genE4ELNS1_11target_archE910ELNS1_3gpuE8ELNS1_3repE0EEENS1_30default_config_static_selectorELNS0_4arch9wavefront6targetE1EEEvT1_,@function
_ZN7rocprim17ROCPRIM_400000_NS6detail17trampoline_kernelINS0_14default_configENS1_25transform_config_selectorImLb1EEEZNS1_14transform_implILb1ES3_S5_PmPlNS0_8identityIvEEEE10hipError_tT2_T3_mT4_P12ihipStream_tbEUlT_E_NS1_11comp_targetILNS1_3genE4ELNS1_11target_archE910ELNS1_3gpuE8ELNS1_3repE0EEENS1_30default_config_static_selectorELNS0_4arch9wavefront6targetE1EEEvT1_: ; @_ZN7rocprim17ROCPRIM_400000_NS6detail17trampoline_kernelINS0_14default_configENS1_25transform_config_selectorImLb1EEEZNS1_14transform_implILb1ES3_S5_PmPlNS0_8identityIvEEEE10hipError_tT2_T3_mT4_P12ihipStream_tbEUlT_E_NS1_11comp_targetILNS1_3genE4ELNS1_11target_archE910ELNS1_3gpuE8ELNS1_3repE0EEENS1_30default_config_static_selectorELNS0_4arch9wavefront6targetE1EEEvT1_
; %bb.0:
	.section	.rodata,"a",@progbits
	.p2align	6, 0x0
	.amdhsa_kernel _ZN7rocprim17ROCPRIM_400000_NS6detail17trampoline_kernelINS0_14default_configENS1_25transform_config_selectorImLb1EEEZNS1_14transform_implILb1ES3_S5_PmPlNS0_8identityIvEEEE10hipError_tT2_T3_mT4_P12ihipStream_tbEUlT_E_NS1_11comp_targetILNS1_3genE4ELNS1_11target_archE910ELNS1_3gpuE8ELNS1_3repE0EEENS1_30default_config_static_selectorELNS0_4arch9wavefront6targetE1EEEvT1_
		.amdhsa_group_segment_fixed_size 0
		.amdhsa_private_segment_fixed_size 0
		.amdhsa_kernarg_size 40
		.amdhsa_user_sgpr_count 2
		.amdhsa_user_sgpr_dispatch_ptr 0
		.amdhsa_user_sgpr_queue_ptr 0
		.amdhsa_user_sgpr_kernarg_segment_ptr 1
		.amdhsa_user_sgpr_dispatch_id 0
		.amdhsa_user_sgpr_kernarg_preload_length 0
		.amdhsa_user_sgpr_kernarg_preload_offset 0
		.amdhsa_user_sgpr_private_segment_size 0
		.amdhsa_uses_dynamic_stack 0
		.amdhsa_enable_private_segment 0
		.amdhsa_system_sgpr_workgroup_id_x 1
		.amdhsa_system_sgpr_workgroup_id_y 0
		.amdhsa_system_sgpr_workgroup_id_z 0
		.amdhsa_system_sgpr_workgroup_info 0
		.amdhsa_system_vgpr_workitem_id 0
		.amdhsa_next_free_vgpr 1
		.amdhsa_next_free_sgpr 0
		.amdhsa_accum_offset 4
		.amdhsa_reserve_vcc 0
		.amdhsa_float_round_mode_32 0
		.amdhsa_float_round_mode_16_64 0
		.amdhsa_float_denorm_mode_32 3
		.amdhsa_float_denorm_mode_16_64 3
		.amdhsa_dx10_clamp 1
		.amdhsa_ieee_mode 1
		.amdhsa_fp16_overflow 0
		.amdhsa_tg_split 0
		.amdhsa_exception_fp_ieee_invalid_op 0
		.amdhsa_exception_fp_denorm_src 0
		.amdhsa_exception_fp_ieee_div_zero 0
		.amdhsa_exception_fp_ieee_overflow 0
		.amdhsa_exception_fp_ieee_underflow 0
		.amdhsa_exception_fp_ieee_inexact 0
		.amdhsa_exception_int_div_zero 0
	.end_amdhsa_kernel
	.section	.text._ZN7rocprim17ROCPRIM_400000_NS6detail17trampoline_kernelINS0_14default_configENS1_25transform_config_selectorImLb1EEEZNS1_14transform_implILb1ES3_S5_PmPlNS0_8identityIvEEEE10hipError_tT2_T3_mT4_P12ihipStream_tbEUlT_E_NS1_11comp_targetILNS1_3genE4ELNS1_11target_archE910ELNS1_3gpuE8ELNS1_3repE0EEENS1_30default_config_static_selectorELNS0_4arch9wavefront6targetE1EEEvT1_,"axG",@progbits,_ZN7rocprim17ROCPRIM_400000_NS6detail17trampoline_kernelINS0_14default_configENS1_25transform_config_selectorImLb1EEEZNS1_14transform_implILb1ES3_S5_PmPlNS0_8identityIvEEEE10hipError_tT2_T3_mT4_P12ihipStream_tbEUlT_E_NS1_11comp_targetILNS1_3genE4ELNS1_11target_archE910ELNS1_3gpuE8ELNS1_3repE0EEENS1_30default_config_static_selectorELNS0_4arch9wavefront6targetE1EEEvT1_,comdat
.Lfunc_end12:
	.size	_ZN7rocprim17ROCPRIM_400000_NS6detail17trampoline_kernelINS0_14default_configENS1_25transform_config_selectorImLb1EEEZNS1_14transform_implILb1ES3_S5_PmPlNS0_8identityIvEEEE10hipError_tT2_T3_mT4_P12ihipStream_tbEUlT_E_NS1_11comp_targetILNS1_3genE4ELNS1_11target_archE910ELNS1_3gpuE8ELNS1_3repE0EEENS1_30default_config_static_selectorELNS0_4arch9wavefront6targetE1EEEvT1_, .Lfunc_end12-_ZN7rocprim17ROCPRIM_400000_NS6detail17trampoline_kernelINS0_14default_configENS1_25transform_config_selectorImLb1EEEZNS1_14transform_implILb1ES3_S5_PmPlNS0_8identityIvEEEE10hipError_tT2_T3_mT4_P12ihipStream_tbEUlT_E_NS1_11comp_targetILNS1_3genE4ELNS1_11target_archE910ELNS1_3gpuE8ELNS1_3repE0EEENS1_30default_config_static_selectorELNS0_4arch9wavefront6targetE1EEEvT1_
                                        ; -- End function
	.section	.AMDGPU.csdata,"",@progbits
; Kernel info:
; codeLenInByte = 0
; NumSgprs: 6
; NumVgprs: 0
; NumAgprs: 0
; TotalNumVgprs: 0
; ScratchSize: 0
; MemoryBound: 0
; FloatMode: 240
; IeeeMode: 1
; LDSByteSize: 0 bytes/workgroup (compile time only)
; SGPRBlocks: 0
; VGPRBlocks: 0
; NumSGPRsForWavesPerEU: 6
; NumVGPRsForWavesPerEU: 1
; AccumOffset: 4
; Occupancy: 8
; WaveLimiterHint : 0
; COMPUTE_PGM_RSRC2:SCRATCH_EN: 0
; COMPUTE_PGM_RSRC2:USER_SGPR: 2
; COMPUTE_PGM_RSRC2:TRAP_HANDLER: 0
; COMPUTE_PGM_RSRC2:TGID_X_EN: 1
; COMPUTE_PGM_RSRC2:TGID_Y_EN: 0
; COMPUTE_PGM_RSRC2:TGID_Z_EN: 0
; COMPUTE_PGM_RSRC2:TIDIG_COMP_CNT: 0
; COMPUTE_PGM_RSRC3_GFX90A:ACCUM_OFFSET: 0
; COMPUTE_PGM_RSRC3_GFX90A:TG_SPLIT: 0
	.section	.text._ZN7rocprim17ROCPRIM_400000_NS6detail17trampoline_kernelINS0_14default_configENS1_25transform_config_selectorImLb1EEEZNS1_14transform_implILb1ES3_S5_PmPlNS0_8identityIvEEEE10hipError_tT2_T3_mT4_P12ihipStream_tbEUlT_E_NS1_11comp_targetILNS1_3genE3ELNS1_11target_archE908ELNS1_3gpuE7ELNS1_3repE0EEENS1_30default_config_static_selectorELNS0_4arch9wavefront6targetE1EEEvT1_,"axG",@progbits,_ZN7rocprim17ROCPRIM_400000_NS6detail17trampoline_kernelINS0_14default_configENS1_25transform_config_selectorImLb1EEEZNS1_14transform_implILb1ES3_S5_PmPlNS0_8identityIvEEEE10hipError_tT2_T3_mT4_P12ihipStream_tbEUlT_E_NS1_11comp_targetILNS1_3genE3ELNS1_11target_archE908ELNS1_3gpuE7ELNS1_3repE0EEENS1_30default_config_static_selectorELNS0_4arch9wavefront6targetE1EEEvT1_,comdat
	.protected	_ZN7rocprim17ROCPRIM_400000_NS6detail17trampoline_kernelINS0_14default_configENS1_25transform_config_selectorImLb1EEEZNS1_14transform_implILb1ES3_S5_PmPlNS0_8identityIvEEEE10hipError_tT2_T3_mT4_P12ihipStream_tbEUlT_E_NS1_11comp_targetILNS1_3genE3ELNS1_11target_archE908ELNS1_3gpuE7ELNS1_3repE0EEENS1_30default_config_static_selectorELNS0_4arch9wavefront6targetE1EEEvT1_ ; -- Begin function _ZN7rocprim17ROCPRIM_400000_NS6detail17trampoline_kernelINS0_14default_configENS1_25transform_config_selectorImLb1EEEZNS1_14transform_implILb1ES3_S5_PmPlNS0_8identityIvEEEE10hipError_tT2_T3_mT4_P12ihipStream_tbEUlT_E_NS1_11comp_targetILNS1_3genE3ELNS1_11target_archE908ELNS1_3gpuE7ELNS1_3repE0EEENS1_30default_config_static_selectorELNS0_4arch9wavefront6targetE1EEEvT1_
	.globl	_ZN7rocprim17ROCPRIM_400000_NS6detail17trampoline_kernelINS0_14default_configENS1_25transform_config_selectorImLb1EEEZNS1_14transform_implILb1ES3_S5_PmPlNS0_8identityIvEEEE10hipError_tT2_T3_mT4_P12ihipStream_tbEUlT_E_NS1_11comp_targetILNS1_3genE3ELNS1_11target_archE908ELNS1_3gpuE7ELNS1_3repE0EEENS1_30default_config_static_selectorELNS0_4arch9wavefront6targetE1EEEvT1_
	.p2align	8
	.type	_ZN7rocprim17ROCPRIM_400000_NS6detail17trampoline_kernelINS0_14default_configENS1_25transform_config_selectorImLb1EEEZNS1_14transform_implILb1ES3_S5_PmPlNS0_8identityIvEEEE10hipError_tT2_T3_mT4_P12ihipStream_tbEUlT_E_NS1_11comp_targetILNS1_3genE3ELNS1_11target_archE908ELNS1_3gpuE7ELNS1_3repE0EEENS1_30default_config_static_selectorELNS0_4arch9wavefront6targetE1EEEvT1_,@function
_ZN7rocprim17ROCPRIM_400000_NS6detail17trampoline_kernelINS0_14default_configENS1_25transform_config_selectorImLb1EEEZNS1_14transform_implILb1ES3_S5_PmPlNS0_8identityIvEEEE10hipError_tT2_T3_mT4_P12ihipStream_tbEUlT_E_NS1_11comp_targetILNS1_3genE3ELNS1_11target_archE908ELNS1_3gpuE7ELNS1_3repE0EEENS1_30default_config_static_selectorELNS0_4arch9wavefront6targetE1EEEvT1_: ; @_ZN7rocprim17ROCPRIM_400000_NS6detail17trampoline_kernelINS0_14default_configENS1_25transform_config_selectorImLb1EEEZNS1_14transform_implILb1ES3_S5_PmPlNS0_8identityIvEEEE10hipError_tT2_T3_mT4_P12ihipStream_tbEUlT_E_NS1_11comp_targetILNS1_3genE3ELNS1_11target_archE908ELNS1_3gpuE7ELNS1_3repE0EEENS1_30default_config_static_selectorELNS0_4arch9wavefront6targetE1EEEvT1_
; %bb.0:
	.section	.rodata,"a",@progbits
	.p2align	6, 0x0
	.amdhsa_kernel _ZN7rocprim17ROCPRIM_400000_NS6detail17trampoline_kernelINS0_14default_configENS1_25transform_config_selectorImLb1EEEZNS1_14transform_implILb1ES3_S5_PmPlNS0_8identityIvEEEE10hipError_tT2_T3_mT4_P12ihipStream_tbEUlT_E_NS1_11comp_targetILNS1_3genE3ELNS1_11target_archE908ELNS1_3gpuE7ELNS1_3repE0EEENS1_30default_config_static_selectorELNS0_4arch9wavefront6targetE1EEEvT1_
		.amdhsa_group_segment_fixed_size 0
		.amdhsa_private_segment_fixed_size 0
		.amdhsa_kernarg_size 40
		.amdhsa_user_sgpr_count 2
		.amdhsa_user_sgpr_dispatch_ptr 0
		.amdhsa_user_sgpr_queue_ptr 0
		.amdhsa_user_sgpr_kernarg_segment_ptr 1
		.amdhsa_user_sgpr_dispatch_id 0
		.amdhsa_user_sgpr_kernarg_preload_length 0
		.amdhsa_user_sgpr_kernarg_preload_offset 0
		.amdhsa_user_sgpr_private_segment_size 0
		.amdhsa_uses_dynamic_stack 0
		.amdhsa_enable_private_segment 0
		.amdhsa_system_sgpr_workgroup_id_x 1
		.amdhsa_system_sgpr_workgroup_id_y 0
		.amdhsa_system_sgpr_workgroup_id_z 0
		.amdhsa_system_sgpr_workgroup_info 0
		.amdhsa_system_vgpr_workitem_id 0
		.amdhsa_next_free_vgpr 1
		.amdhsa_next_free_sgpr 0
		.amdhsa_accum_offset 4
		.amdhsa_reserve_vcc 0
		.amdhsa_float_round_mode_32 0
		.amdhsa_float_round_mode_16_64 0
		.amdhsa_float_denorm_mode_32 3
		.amdhsa_float_denorm_mode_16_64 3
		.amdhsa_dx10_clamp 1
		.amdhsa_ieee_mode 1
		.amdhsa_fp16_overflow 0
		.amdhsa_tg_split 0
		.amdhsa_exception_fp_ieee_invalid_op 0
		.amdhsa_exception_fp_denorm_src 0
		.amdhsa_exception_fp_ieee_div_zero 0
		.amdhsa_exception_fp_ieee_overflow 0
		.amdhsa_exception_fp_ieee_underflow 0
		.amdhsa_exception_fp_ieee_inexact 0
		.amdhsa_exception_int_div_zero 0
	.end_amdhsa_kernel
	.section	.text._ZN7rocprim17ROCPRIM_400000_NS6detail17trampoline_kernelINS0_14default_configENS1_25transform_config_selectorImLb1EEEZNS1_14transform_implILb1ES3_S5_PmPlNS0_8identityIvEEEE10hipError_tT2_T3_mT4_P12ihipStream_tbEUlT_E_NS1_11comp_targetILNS1_3genE3ELNS1_11target_archE908ELNS1_3gpuE7ELNS1_3repE0EEENS1_30default_config_static_selectorELNS0_4arch9wavefront6targetE1EEEvT1_,"axG",@progbits,_ZN7rocprim17ROCPRIM_400000_NS6detail17trampoline_kernelINS0_14default_configENS1_25transform_config_selectorImLb1EEEZNS1_14transform_implILb1ES3_S5_PmPlNS0_8identityIvEEEE10hipError_tT2_T3_mT4_P12ihipStream_tbEUlT_E_NS1_11comp_targetILNS1_3genE3ELNS1_11target_archE908ELNS1_3gpuE7ELNS1_3repE0EEENS1_30default_config_static_selectorELNS0_4arch9wavefront6targetE1EEEvT1_,comdat
.Lfunc_end13:
	.size	_ZN7rocprim17ROCPRIM_400000_NS6detail17trampoline_kernelINS0_14default_configENS1_25transform_config_selectorImLb1EEEZNS1_14transform_implILb1ES3_S5_PmPlNS0_8identityIvEEEE10hipError_tT2_T3_mT4_P12ihipStream_tbEUlT_E_NS1_11comp_targetILNS1_3genE3ELNS1_11target_archE908ELNS1_3gpuE7ELNS1_3repE0EEENS1_30default_config_static_selectorELNS0_4arch9wavefront6targetE1EEEvT1_, .Lfunc_end13-_ZN7rocprim17ROCPRIM_400000_NS6detail17trampoline_kernelINS0_14default_configENS1_25transform_config_selectorImLb1EEEZNS1_14transform_implILb1ES3_S5_PmPlNS0_8identityIvEEEE10hipError_tT2_T3_mT4_P12ihipStream_tbEUlT_E_NS1_11comp_targetILNS1_3genE3ELNS1_11target_archE908ELNS1_3gpuE7ELNS1_3repE0EEENS1_30default_config_static_selectorELNS0_4arch9wavefront6targetE1EEEvT1_
                                        ; -- End function
	.section	.AMDGPU.csdata,"",@progbits
; Kernel info:
; codeLenInByte = 0
; NumSgprs: 6
; NumVgprs: 0
; NumAgprs: 0
; TotalNumVgprs: 0
; ScratchSize: 0
; MemoryBound: 0
; FloatMode: 240
; IeeeMode: 1
; LDSByteSize: 0 bytes/workgroup (compile time only)
; SGPRBlocks: 0
; VGPRBlocks: 0
; NumSGPRsForWavesPerEU: 6
; NumVGPRsForWavesPerEU: 1
; AccumOffset: 4
; Occupancy: 8
; WaveLimiterHint : 0
; COMPUTE_PGM_RSRC2:SCRATCH_EN: 0
; COMPUTE_PGM_RSRC2:USER_SGPR: 2
; COMPUTE_PGM_RSRC2:TRAP_HANDLER: 0
; COMPUTE_PGM_RSRC2:TGID_X_EN: 1
; COMPUTE_PGM_RSRC2:TGID_Y_EN: 0
; COMPUTE_PGM_RSRC2:TGID_Z_EN: 0
; COMPUTE_PGM_RSRC2:TIDIG_COMP_CNT: 0
; COMPUTE_PGM_RSRC3_GFX90A:ACCUM_OFFSET: 0
; COMPUTE_PGM_RSRC3_GFX90A:TG_SPLIT: 0
	.section	.text._ZN7rocprim17ROCPRIM_400000_NS6detail17trampoline_kernelINS0_14default_configENS1_25transform_config_selectorImLb1EEEZNS1_14transform_implILb1ES3_S5_PmPlNS0_8identityIvEEEE10hipError_tT2_T3_mT4_P12ihipStream_tbEUlT_E_NS1_11comp_targetILNS1_3genE2ELNS1_11target_archE906ELNS1_3gpuE6ELNS1_3repE0EEENS1_30default_config_static_selectorELNS0_4arch9wavefront6targetE1EEEvT1_,"axG",@progbits,_ZN7rocprim17ROCPRIM_400000_NS6detail17trampoline_kernelINS0_14default_configENS1_25transform_config_selectorImLb1EEEZNS1_14transform_implILb1ES3_S5_PmPlNS0_8identityIvEEEE10hipError_tT2_T3_mT4_P12ihipStream_tbEUlT_E_NS1_11comp_targetILNS1_3genE2ELNS1_11target_archE906ELNS1_3gpuE6ELNS1_3repE0EEENS1_30default_config_static_selectorELNS0_4arch9wavefront6targetE1EEEvT1_,comdat
	.protected	_ZN7rocprim17ROCPRIM_400000_NS6detail17trampoline_kernelINS0_14default_configENS1_25transform_config_selectorImLb1EEEZNS1_14transform_implILb1ES3_S5_PmPlNS0_8identityIvEEEE10hipError_tT2_T3_mT4_P12ihipStream_tbEUlT_E_NS1_11comp_targetILNS1_3genE2ELNS1_11target_archE906ELNS1_3gpuE6ELNS1_3repE0EEENS1_30default_config_static_selectorELNS0_4arch9wavefront6targetE1EEEvT1_ ; -- Begin function _ZN7rocprim17ROCPRIM_400000_NS6detail17trampoline_kernelINS0_14default_configENS1_25transform_config_selectorImLb1EEEZNS1_14transform_implILb1ES3_S5_PmPlNS0_8identityIvEEEE10hipError_tT2_T3_mT4_P12ihipStream_tbEUlT_E_NS1_11comp_targetILNS1_3genE2ELNS1_11target_archE906ELNS1_3gpuE6ELNS1_3repE0EEENS1_30default_config_static_selectorELNS0_4arch9wavefront6targetE1EEEvT1_
	.globl	_ZN7rocprim17ROCPRIM_400000_NS6detail17trampoline_kernelINS0_14default_configENS1_25transform_config_selectorImLb1EEEZNS1_14transform_implILb1ES3_S5_PmPlNS0_8identityIvEEEE10hipError_tT2_T3_mT4_P12ihipStream_tbEUlT_E_NS1_11comp_targetILNS1_3genE2ELNS1_11target_archE906ELNS1_3gpuE6ELNS1_3repE0EEENS1_30default_config_static_selectorELNS0_4arch9wavefront6targetE1EEEvT1_
	.p2align	8
	.type	_ZN7rocprim17ROCPRIM_400000_NS6detail17trampoline_kernelINS0_14default_configENS1_25transform_config_selectorImLb1EEEZNS1_14transform_implILb1ES3_S5_PmPlNS0_8identityIvEEEE10hipError_tT2_T3_mT4_P12ihipStream_tbEUlT_E_NS1_11comp_targetILNS1_3genE2ELNS1_11target_archE906ELNS1_3gpuE6ELNS1_3repE0EEENS1_30default_config_static_selectorELNS0_4arch9wavefront6targetE1EEEvT1_,@function
_ZN7rocprim17ROCPRIM_400000_NS6detail17trampoline_kernelINS0_14default_configENS1_25transform_config_selectorImLb1EEEZNS1_14transform_implILb1ES3_S5_PmPlNS0_8identityIvEEEE10hipError_tT2_T3_mT4_P12ihipStream_tbEUlT_E_NS1_11comp_targetILNS1_3genE2ELNS1_11target_archE906ELNS1_3gpuE6ELNS1_3repE0EEENS1_30default_config_static_selectorELNS0_4arch9wavefront6targetE1EEEvT1_: ; @_ZN7rocprim17ROCPRIM_400000_NS6detail17trampoline_kernelINS0_14default_configENS1_25transform_config_selectorImLb1EEEZNS1_14transform_implILb1ES3_S5_PmPlNS0_8identityIvEEEE10hipError_tT2_T3_mT4_P12ihipStream_tbEUlT_E_NS1_11comp_targetILNS1_3genE2ELNS1_11target_archE906ELNS1_3gpuE6ELNS1_3repE0EEENS1_30default_config_static_selectorELNS0_4arch9wavefront6targetE1EEEvT1_
; %bb.0:
	.section	.rodata,"a",@progbits
	.p2align	6, 0x0
	.amdhsa_kernel _ZN7rocprim17ROCPRIM_400000_NS6detail17trampoline_kernelINS0_14default_configENS1_25transform_config_selectorImLb1EEEZNS1_14transform_implILb1ES3_S5_PmPlNS0_8identityIvEEEE10hipError_tT2_T3_mT4_P12ihipStream_tbEUlT_E_NS1_11comp_targetILNS1_3genE2ELNS1_11target_archE906ELNS1_3gpuE6ELNS1_3repE0EEENS1_30default_config_static_selectorELNS0_4arch9wavefront6targetE1EEEvT1_
		.amdhsa_group_segment_fixed_size 0
		.amdhsa_private_segment_fixed_size 0
		.amdhsa_kernarg_size 40
		.amdhsa_user_sgpr_count 2
		.amdhsa_user_sgpr_dispatch_ptr 0
		.amdhsa_user_sgpr_queue_ptr 0
		.amdhsa_user_sgpr_kernarg_segment_ptr 1
		.amdhsa_user_sgpr_dispatch_id 0
		.amdhsa_user_sgpr_kernarg_preload_length 0
		.amdhsa_user_sgpr_kernarg_preload_offset 0
		.amdhsa_user_sgpr_private_segment_size 0
		.amdhsa_uses_dynamic_stack 0
		.amdhsa_enable_private_segment 0
		.amdhsa_system_sgpr_workgroup_id_x 1
		.amdhsa_system_sgpr_workgroup_id_y 0
		.amdhsa_system_sgpr_workgroup_id_z 0
		.amdhsa_system_sgpr_workgroup_info 0
		.amdhsa_system_vgpr_workitem_id 0
		.amdhsa_next_free_vgpr 1
		.amdhsa_next_free_sgpr 0
		.amdhsa_accum_offset 4
		.amdhsa_reserve_vcc 0
		.amdhsa_float_round_mode_32 0
		.amdhsa_float_round_mode_16_64 0
		.amdhsa_float_denorm_mode_32 3
		.amdhsa_float_denorm_mode_16_64 3
		.amdhsa_dx10_clamp 1
		.amdhsa_ieee_mode 1
		.amdhsa_fp16_overflow 0
		.amdhsa_tg_split 0
		.amdhsa_exception_fp_ieee_invalid_op 0
		.amdhsa_exception_fp_denorm_src 0
		.amdhsa_exception_fp_ieee_div_zero 0
		.amdhsa_exception_fp_ieee_overflow 0
		.amdhsa_exception_fp_ieee_underflow 0
		.amdhsa_exception_fp_ieee_inexact 0
		.amdhsa_exception_int_div_zero 0
	.end_amdhsa_kernel
	.section	.text._ZN7rocprim17ROCPRIM_400000_NS6detail17trampoline_kernelINS0_14default_configENS1_25transform_config_selectorImLb1EEEZNS1_14transform_implILb1ES3_S5_PmPlNS0_8identityIvEEEE10hipError_tT2_T3_mT4_P12ihipStream_tbEUlT_E_NS1_11comp_targetILNS1_3genE2ELNS1_11target_archE906ELNS1_3gpuE6ELNS1_3repE0EEENS1_30default_config_static_selectorELNS0_4arch9wavefront6targetE1EEEvT1_,"axG",@progbits,_ZN7rocprim17ROCPRIM_400000_NS6detail17trampoline_kernelINS0_14default_configENS1_25transform_config_selectorImLb1EEEZNS1_14transform_implILb1ES3_S5_PmPlNS0_8identityIvEEEE10hipError_tT2_T3_mT4_P12ihipStream_tbEUlT_E_NS1_11comp_targetILNS1_3genE2ELNS1_11target_archE906ELNS1_3gpuE6ELNS1_3repE0EEENS1_30default_config_static_selectorELNS0_4arch9wavefront6targetE1EEEvT1_,comdat
.Lfunc_end14:
	.size	_ZN7rocprim17ROCPRIM_400000_NS6detail17trampoline_kernelINS0_14default_configENS1_25transform_config_selectorImLb1EEEZNS1_14transform_implILb1ES3_S5_PmPlNS0_8identityIvEEEE10hipError_tT2_T3_mT4_P12ihipStream_tbEUlT_E_NS1_11comp_targetILNS1_3genE2ELNS1_11target_archE906ELNS1_3gpuE6ELNS1_3repE0EEENS1_30default_config_static_selectorELNS0_4arch9wavefront6targetE1EEEvT1_, .Lfunc_end14-_ZN7rocprim17ROCPRIM_400000_NS6detail17trampoline_kernelINS0_14default_configENS1_25transform_config_selectorImLb1EEEZNS1_14transform_implILb1ES3_S5_PmPlNS0_8identityIvEEEE10hipError_tT2_T3_mT4_P12ihipStream_tbEUlT_E_NS1_11comp_targetILNS1_3genE2ELNS1_11target_archE906ELNS1_3gpuE6ELNS1_3repE0EEENS1_30default_config_static_selectorELNS0_4arch9wavefront6targetE1EEEvT1_
                                        ; -- End function
	.section	.AMDGPU.csdata,"",@progbits
; Kernel info:
; codeLenInByte = 0
; NumSgprs: 6
; NumVgprs: 0
; NumAgprs: 0
; TotalNumVgprs: 0
; ScratchSize: 0
; MemoryBound: 0
; FloatMode: 240
; IeeeMode: 1
; LDSByteSize: 0 bytes/workgroup (compile time only)
; SGPRBlocks: 0
; VGPRBlocks: 0
; NumSGPRsForWavesPerEU: 6
; NumVGPRsForWavesPerEU: 1
; AccumOffset: 4
; Occupancy: 8
; WaveLimiterHint : 0
; COMPUTE_PGM_RSRC2:SCRATCH_EN: 0
; COMPUTE_PGM_RSRC2:USER_SGPR: 2
; COMPUTE_PGM_RSRC2:TRAP_HANDLER: 0
; COMPUTE_PGM_RSRC2:TGID_X_EN: 1
; COMPUTE_PGM_RSRC2:TGID_Y_EN: 0
; COMPUTE_PGM_RSRC2:TGID_Z_EN: 0
; COMPUTE_PGM_RSRC2:TIDIG_COMP_CNT: 0
; COMPUTE_PGM_RSRC3_GFX90A:ACCUM_OFFSET: 0
; COMPUTE_PGM_RSRC3_GFX90A:TG_SPLIT: 0
	.section	.text._ZN7rocprim17ROCPRIM_400000_NS6detail17trampoline_kernelINS0_14default_configENS1_25transform_config_selectorImLb1EEEZNS1_14transform_implILb1ES3_S5_PmPlNS0_8identityIvEEEE10hipError_tT2_T3_mT4_P12ihipStream_tbEUlT_E_NS1_11comp_targetILNS1_3genE9ELNS1_11target_archE1100ELNS1_3gpuE3ELNS1_3repE0EEENS1_30default_config_static_selectorELNS0_4arch9wavefront6targetE1EEEvT1_,"axG",@progbits,_ZN7rocprim17ROCPRIM_400000_NS6detail17trampoline_kernelINS0_14default_configENS1_25transform_config_selectorImLb1EEEZNS1_14transform_implILb1ES3_S5_PmPlNS0_8identityIvEEEE10hipError_tT2_T3_mT4_P12ihipStream_tbEUlT_E_NS1_11comp_targetILNS1_3genE9ELNS1_11target_archE1100ELNS1_3gpuE3ELNS1_3repE0EEENS1_30default_config_static_selectorELNS0_4arch9wavefront6targetE1EEEvT1_,comdat
	.protected	_ZN7rocprim17ROCPRIM_400000_NS6detail17trampoline_kernelINS0_14default_configENS1_25transform_config_selectorImLb1EEEZNS1_14transform_implILb1ES3_S5_PmPlNS0_8identityIvEEEE10hipError_tT2_T3_mT4_P12ihipStream_tbEUlT_E_NS1_11comp_targetILNS1_3genE9ELNS1_11target_archE1100ELNS1_3gpuE3ELNS1_3repE0EEENS1_30default_config_static_selectorELNS0_4arch9wavefront6targetE1EEEvT1_ ; -- Begin function _ZN7rocprim17ROCPRIM_400000_NS6detail17trampoline_kernelINS0_14default_configENS1_25transform_config_selectorImLb1EEEZNS1_14transform_implILb1ES3_S5_PmPlNS0_8identityIvEEEE10hipError_tT2_T3_mT4_P12ihipStream_tbEUlT_E_NS1_11comp_targetILNS1_3genE9ELNS1_11target_archE1100ELNS1_3gpuE3ELNS1_3repE0EEENS1_30default_config_static_selectorELNS0_4arch9wavefront6targetE1EEEvT1_
	.globl	_ZN7rocprim17ROCPRIM_400000_NS6detail17trampoline_kernelINS0_14default_configENS1_25transform_config_selectorImLb1EEEZNS1_14transform_implILb1ES3_S5_PmPlNS0_8identityIvEEEE10hipError_tT2_T3_mT4_P12ihipStream_tbEUlT_E_NS1_11comp_targetILNS1_3genE9ELNS1_11target_archE1100ELNS1_3gpuE3ELNS1_3repE0EEENS1_30default_config_static_selectorELNS0_4arch9wavefront6targetE1EEEvT1_
	.p2align	8
	.type	_ZN7rocprim17ROCPRIM_400000_NS6detail17trampoline_kernelINS0_14default_configENS1_25transform_config_selectorImLb1EEEZNS1_14transform_implILb1ES3_S5_PmPlNS0_8identityIvEEEE10hipError_tT2_T3_mT4_P12ihipStream_tbEUlT_E_NS1_11comp_targetILNS1_3genE9ELNS1_11target_archE1100ELNS1_3gpuE3ELNS1_3repE0EEENS1_30default_config_static_selectorELNS0_4arch9wavefront6targetE1EEEvT1_,@function
_ZN7rocprim17ROCPRIM_400000_NS6detail17trampoline_kernelINS0_14default_configENS1_25transform_config_selectorImLb1EEEZNS1_14transform_implILb1ES3_S5_PmPlNS0_8identityIvEEEE10hipError_tT2_T3_mT4_P12ihipStream_tbEUlT_E_NS1_11comp_targetILNS1_3genE9ELNS1_11target_archE1100ELNS1_3gpuE3ELNS1_3repE0EEENS1_30default_config_static_selectorELNS0_4arch9wavefront6targetE1EEEvT1_: ; @_ZN7rocprim17ROCPRIM_400000_NS6detail17trampoline_kernelINS0_14default_configENS1_25transform_config_selectorImLb1EEEZNS1_14transform_implILb1ES3_S5_PmPlNS0_8identityIvEEEE10hipError_tT2_T3_mT4_P12ihipStream_tbEUlT_E_NS1_11comp_targetILNS1_3genE9ELNS1_11target_archE1100ELNS1_3gpuE3ELNS1_3repE0EEENS1_30default_config_static_selectorELNS0_4arch9wavefront6targetE1EEEvT1_
; %bb.0:
	.section	.rodata,"a",@progbits
	.p2align	6, 0x0
	.amdhsa_kernel _ZN7rocprim17ROCPRIM_400000_NS6detail17trampoline_kernelINS0_14default_configENS1_25transform_config_selectorImLb1EEEZNS1_14transform_implILb1ES3_S5_PmPlNS0_8identityIvEEEE10hipError_tT2_T3_mT4_P12ihipStream_tbEUlT_E_NS1_11comp_targetILNS1_3genE9ELNS1_11target_archE1100ELNS1_3gpuE3ELNS1_3repE0EEENS1_30default_config_static_selectorELNS0_4arch9wavefront6targetE1EEEvT1_
		.amdhsa_group_segment_fixed_size 0
		.amdhsa_private_segment_fixed_size 0
		.amdhsa_kernarg_size 40
		.amdhsa_user_sgpr_count 2
		.amdhsa_user_sgpr_dispatch_ptr 0
		.amdhsa_user_sgpr_queue_ptr 0
		.amdhsa_user_sgpr_kernarg_segment_ptr 1
		.amdhsa_user_sgpr_dispatch_id 0
		.amdhsa_user_sgpr_kernarg_preload_length 0
		.amdhsa_user_sgpr_kernarg_preload_offset 0
		.amdhsa_user_sgpr_private_segment_size 0
		.amdhsa_uses_dynamic_stack 0
		.amdhsa_enable_private_segment 0
		.amdhsa_system_sgpr_workgroup_id_x 1
		.amdhsa_system_sgpr_workgroup_id_y 0
		.amdhsa_system_sgpr_workgroup_id_z 0
		.amdhsa_system_sgpr_workgroup_info 0
		.amdhsa_system_vgpr_workitem_id 0
		.amdhsa_next_free_vgpr 1
		.amdhsa_next_free_sgpr 0
		.amdhsa_accum_offset 4
		.amdhsa_reserve_vcc 0
		.amdhsa_float_round_mode_32 0
		.amdhsa_float_round_mode_16_64 0
		.amdhsa_float_denorm_mode_32 3
		.amdhsa_float_denorm_mode_16_64 3
		.amdhsa_dx10_clamp 1
		.amdhsa_ieee_mode 1
		.amdhsa_fp16_overflow 0
		.amdhsa_tg_split 0
		.amdhsa_exception_fp_ieee_invalid_op 0
		.amdhsa_exception_fp_denorm_src 0
		.amdhsa_exception_fp_ieee_div_zero 0
		.amdhsa_exception_fp_ieee_overflow 0
		.amdhsa_exception_fp_ieee_underflow 0
		.amdhsa_exception_fp_ieee_inexact 0
		.amdhsa_exception_int_div_zero 0
	.end_amdhsa_kernel
	.section	.text._ZN7rocprim17ROCPRIM_400000_NS6detail17trampoline_kernelINS0_14default_configENS1_25transform_config_selectorImLb1EEEZNS1_14transform_implILb1ES3_S5_PmPlNS0_8identityIvEEEE10hipError_tT2_T3_mT4_P12ihipStream_tbEUlT_E_NS1_11comp_targetILNS1_3genE9ELNS1_11target_archE1100ELNS1_3gpuE3ELNS1_3repE0EEENS1_30default_config_static_selectorELNS0_4arch9wavefront6targetE1EEEvT1_,"axG",@progbits,_ZN7rocprim17ROCPRIM_400000_NS6detail17trampoline_kernelINS0_14default_configENS1_25transform_config_selectorImLb1EEEZNS1_14transform_implILb1ES3_S5_PmPlNS0_8identityIvEEEE10hipError_tT2_T3_mT4_P12ihipStream_tbEUlT_E_NS1_11comp_targetILNS1_3genE9ELNS1_11target_archE1100ELNS1_3gpuE3ELNS1_3repE0EEENS1_30default_config_static_selectorELNS0_4arch9wavefront6targetE1EEEvT1_,comdat
.Lfunc_end15:
	.size	_ZN7rocprim17ROCPRIM_400000_NS6detail17trampoline_kernelINS0_14default_configENS1_25transform_config_selectorImLb1EEEZNS1_14transform_implILb1ES3_S5_PmPlNS0_8identityIvEEEE10hipError_tT2_T3_mT4_P12ihipStream_tbEUlT_E_NS1_11comp_targetILNS1_3genE9ELNS1_11target_archE1100ELNS1_3gpuE3ELNS1_3repE0EEENS1_30default_config_static_selectorELNS0_4arch9wavefront6targetE1EEEvT1_, .Lfunc_end15-_ZN7rocprim17ROCPRIM_400000_NS6detail17trampoline_kernelINS0_14default_configENS1_25transform_config_selectorImLb1EEEZNS1_14transform_implILb1ES3_S5_PmPlNS0_8identityIvEEEE10hipError_tT2_T3_mT4_P12ihipStream_tbEUlT_E_NS1_11comp_targetILNS1_3genE9ELNS1_11target_archE1100ELNS1_3gpuE3ELNS1_3repE0EEENS1_30default_config_static_selectorELNS0_4arch9wavefront6targetE1EEEvT1_
                                        ; -- End function
	.section	.AMDGPU.csdata,"",@progbits
; Kernel info:
; codeLenInByte = 0
; NumSgprs: 6
; NumVgprs: 0
; NumAgprs: 0
; TotalNumVgprs: 0
; ScratchSize: 0
; MemoryBound: 0
; FloatMode: 240
; IeeeMode: 1
; LDSByteSize: 0 bytes/workgroup (compile time only)
; SGPRBlocks: 0
; VGPRBlocks: 0
; NumSGPRsForWavesPerEU: 6
; NumVGPRsForWavesPerEU: 1
; AccumOffset: 4
; Occupancy: 8
; WaveLimiterHint : 0
; COMPUTE_PGM_RSRC2:SCRATCH_EN: 0
; COMPUTE_PGM_RSRC2:USER_SGPR: 2
; COMPUTE_PGM_RSRC2:TRAP_HANDLER: 0
; COMPUTE_PGM_RSRC2:TGID_X_EN: 1
; COMPUTE_PGM_RSRC2:TGID_Y_EN: 0
; COMPUTE_PGM_RSRC2:TGID_Z_EN: 0
; COMPUTE_PGM_RSRC2:TIDIG_COMP_CNT: 0
; COMPUTE_PGM_RSRC3_GFX90A:ACCUM_OFFSET: 0
; COMPUTE_PGM_RSRC3_GFX90A:TG_SPLIT: 0
	.section	.text._ZN7rocprim17ROCPRIM_400000_NS6detail17trampoline_kernelINS0_14default_configENS1_25transform_config_selectorImLb1EEEZNS1_14transform_implILb1ES3_S5_PmPlNS0_8identityIvEEEE10hipError_tT2_T3_mT4_P12ihipStream_tbEUlT_E_NS1_11comp_targetILNS1_3genE8ELNS1_11target_archE1030ELNS1_3gpuE2ELNS1_3repE0EEENS1_30default_config_static_selectorELNS0_4arch9wavefront6targetE1EEEvT1_,"axG",@progbits,_ZN7rocprim17ROCPRIM_400000_NS6detail17trampoline_kernelINS0_14default_configENS1_25transform_config_selectorImLb1EEEZNS1_14transform_implILb1ES3_S5_PmPlNS0_8identityIvEEEE10hipError_tT2_T3_mT4_P12ihipStream_tbEUlT_E_NS1_11comp_targetILNS1_3genE8ELNS1_11target_archE1030ELNS1_3gpuE2ELNS1_3repE0EEENS1_30default_config_static_selectorELNS0_4arch9wavefront6targetE1EEEvT1_,comdat
	.protected	_ZN7rocprim17ROCPRIM_400000_NS6detail17trampoline_kernelINS0_14default_configENS1_25transform_config_selectorImLb1EEEZNS1_14transform_implILb1ES3_S5_PmPlNS0_8identityIvEEEE10hipError_tT2_T3_mT4_P12ihipStream_tbEUlT_E_NS1_11comp_targetILNS1_3genE8ELNS1_11target_archE1030ELNS1_3gpuE2ELNS1_3repE0EEENS1_30default_config_static_selectorELNS0_4arch9wavefront6targetE1EEEvT1_ ; -- Begin function _ZN7rocprim17ROCPRIM_400000_NS6detail17trampoline_kernelINS0_14default_configENS1_25transform_config_selectorImLb1EEEZNS1_14transform_implILb1ES3_S5_PmPlNS0_8identityIvEEEE10hipError_tT2_T3_mT4_P12ihipStream_tbEUlT_E_NS1_11comp_targetILNS1_3genE8ELNS1_11target_archE1030ELNS1_3gpuE2ELNS1_3repE0EEENS1_30default_config_static_selectorELNS0_4arch9wavefront6targetE1EEEvT1_
	.globl	_ZN7rocprim17ROCPRIM_400000_NS6detail17trampoline_kernelINS0_14default_configENS1_25transform_config_selectorImLb1EEEZNS1_14transform_implILb1ES3_S5_PmPlNS0_8identityIvEEEE10hipError_tT2_T3_mT4_P12ihipStream_tbEUlT_E_NS1_11comp_targetILNS1_3genE8ELNS1_11target_archE1030ELNS1_3gpuE2ELNS1_3repE0EEENS1_30default_config_static_selectorELNS0_4arch9wavefront6targetE1EEEvT1_
	.p2align	8
	.type	_ZN7rocprim17ROCPRIM_400000_NS6detail17trampoline_kernelINS0_14default_configENS1_25transform_config_selectorImLb1EEEZNS1_14transform_implILb1ES3_S5_PmPlNS0_8identityIvEEEE10hipError_tT2_T3_mT4_P12ihipStream_tbEUlT_E_NS1_11comp_targetILNS1_3genE8ELNS1_11target_archE1030ELNS1_3gpuE2ELNS1_3repE0EEENS1_30default_config_static_selectorELNS0_4arch9wavefront6targetE1EEEvT1_,@function
_ZN7rocprim17ROCPRIM_400000_NS6detail17trampoline_kernelINS0_14default_configENS1_25transform_config_selectorImLb1EEEZNS1_14transform_implILb1ES3_S5_PmPlNS0_8identityIvEEEE10hipError_tT2_T3_mT4_P12ihipStream_tbEUlT_E_NS1_11comp_targetILNS1_3genE8ELNS1_11target_archE1030ELNS1_3gpuE2ELNS1_3repE0EEENS1_30default_config_static_selectorELNS0_4arch9wavefront6targetE1EEEvT1_: ; @_ZN7rocprim17ROCPRIM_400000_NS6detail17trampoline_kernelINS0_14default_configENS1_25transform_config_selectorImLb1EEEZNS1_14transform_implILb1ES3_S5_PmPlNS0_8identityIvEEEE10hipError_tT2_T3_mT4_P12ihipStream_tbEUlT_E_NS1_11comp_targetILNS1_3genE8ELNS1_11target_archE1030ELNS1_3gpuE2ELNS1_3repE0EEENS1_30default_config_static_selectorELNS0_4arch9wavefront6targetE1EEEvT1_
; %bb.0:
	.section	.rodata,"a",@progbits
	.p2align	6, 0x0
	.amdhsa_kernel _ZN7rocprim17ROCPRIM_400000_NS6detail17trampoline_kernelINS0_14default_configENS1_25transform_config_selectorImLb1EEEZNS1_14transform_implILb1ES3_S5_PmPlNS0_8identityIvEEEE10hipError_tT2_T3_mT4_P12ihipStream_tbEUlT_E_NS1_11comp_targetILNS1_3genE8ELNS1_11target_archE1030ELNS1_3gpuE2ELNS1_3repE0EEENS1_30default_config_static_selectorELNS0_4arch9wavefront6targetE1EEEvT1_
		.amdhsa_group_segment_fixed_size 0
		.amdhsa_private_segment_fixed_size 0
		.amdhsa_kernarg_size 40
		.amdhsa_user_sgpr_count 2
		.amdhsa_user_sgpr_dispatch_ptr 0
		.amdhsa_user_sgpr_queue_ptr 0
		.amdhsa_user_sgpr_kernarg_segment_ptr 1
		.amdhsa_user_sgpr_dispatch_id 0
		.amdhsa_user_sgpr_kernarg_preload_length 0
		.amdhsa_user_sgpr_kernarg_preload_offset 0
		.amdhsa_user_sgpr_private_segment_size 0
		.amdhsa_uses_dynamic_stack 0
		.amdhsa_enable_private_segment 0
		.amdhsa_system_sgpr_workgroup_id_x 1
		.amdhsa_system_sgpr_workgroup_id_y 0
		.amdhsa_system_sgpr_workgroup_id_z 0
		.amdhsa_system_sgpr_workgroup_info 0
		.amdhsa_system_vgpr_workitem_id 0
		.amdhsa_next_free_vgpr 1
		.amdhsa_next_free_sgpr 0
		.amdhsa_accum_offset 4
		.amdhsa_reserve_vcc 0
		.amdhsa_float_round_mode_32 0
		.amdhsa_float_round_mode_16_64 0
		.amdhsa_float_denorm_mode_32 3
		.amdhsa_float_denorm_mode_16_64 3
		.amdhsa_dx10_clamp 1
		.amdhsa_ieee_mode 1
		.amdhsa_fp16_overflow 0
		.amdhsa_tg_split 0
		.amdhsa_exception_fp_ieee_invalid_op 0
		.amdhsa_exception_fp_denorm_src 0
		.amdhsa_exception_fp_ieee_div_zero 0
		.amdhsa_exception_fp_ieee_overflow 0
		.amdhsa_exception_fp_ieee_underflow 0
		.amdhsa_exception_fp_ieee_inexact 0
		.amdhsa_exception_int_div_zero 0
	.end_amdhsa_kernel
	.section	.text._ZN7rocprim17ROCPRIM_400000_NS6detail17trampoline_kernelINS0_14default_configENS1_25transform_config_selectorImLb1EEEZNS1_14transform_implILb1ES3_S5_PmPlNS0_8identityIvEEEE10hipError_tT2_T3_mT4_P12ihipStream_tbEUlT_E_NS1_11comp_targetILNS1_3genE8ELNS1_11target_archE1030ELNS1_3gpuE2ELNS1_3repE0EEENS1_30default_config_static_selectorELNS0_4arch9wavefront6targetE1EEEvT1_,"axG",@progbits,_ZN7rocprim17ROCPRIM_400000_NS6detail17trampoline_kernelINS0_14default_configENS1_25transform_config_selectorImLb1EEEZNS1_14transform_implILb1ES3_S5_PmPlNS0_8identityIvEEEE10hipError_tT2_T3_mT4_P12ihipStream_tbEUlT_E_NS1_11comp_targetILNS1_3genE8ELNS1_11target_archE1030ELNS1_3gpuE2ELNS1_3repE0EEENS1_30default_config_static_selectorELNS0_4arch9wavefront6targetE1EEEvT1_,comdat
.Lfunc_end16:
	.size	_ZN7rocprim17ROCPRIM_400000_NS6detail17trampoline_kernelINS0_14default_configENS1_25transform_config_selectorImLb1EEEZNS1_14transform_implILb1ES3_S5_PmPlNS0_8identityIvEEEE10hipError_tT2_T3_mT4_P12ihipStream_tbEUlT_E_NS1_11comp_targetILNS1_3genE8ELNS1_11target_archE1030ELNS1_3gpuE2ELNS1_3repE0EEENS1_30default_config_static_selectorELNS0_4arch9wavefront6targetE1EEEvT1_, .Lfunc_end16-_ZN7rocprim17ROCPRIM_400000_NS6detail17trampoline_kernelINS0_14default_configENS1_25transform_config_selectorImLb1EEEZNS1_14transform_implILb1ES3_S5_PmPlNS0_8identityIvEEEE10hipError_tT2_T3_mT4_P12ihipStream_tbEUlT_E_NS1_11comp_targetILNS1_3genE8ELNS1_11target_archE1030ELNS1_3gpuE2ELNS1_3repE0EEENS1_30default_config_static_selectorELNS0_4arch9wavefront6targetE1EEEvT1_
                                        ; -- End function
	.section	.AMDGPU.csdata,"",@progbits
; Kernel info:
; codeLenInByte = 0
; NumSgprs: 6
; NumVgprs: 0
; NumAgprs: 0
; TotalNumVgprs: 0
; ScratchSize: 0
; MemoryBound: 0
; FloatMode: 240
; IeeeMode: 1
; LDSByteSize: 0 bytes/workgroup (compile time only)
; SGPRBlocks: 0
; VGPRBlocks: 0
; NumSGPRsForWavesPerEU: 6
; NumVGPRsForWavesPerEU: 1
; AccumOffset: 4
; Occupancy: 8
; WaveLimiterHint : 0
; COMPUTE_PGM_RSRC2:SCRATCH_EN: 0
; COMPUTE_PGM_RSRC2:USER_SGPR: 2
; COMPUTE_PGM_RSRC2:TRAP_HANDLER: 0
; COMPUTE_PGM_RSRC2:TGID_X_EN: 1
; COMPUTE_PGM_RSRC2:TGID_Y_EN: 0
; COMPUTE_PGM_RSRC2:TGID_Z_EN: 0
; COMPUTE_PGM_RSRC2:TIDIG_COMP_CNT: 0
; COMPUTE_PGM_RSRC3_GFX90A:ACCUM_OFFSET: 0
; COMPUTE_PGM_RSRC3_GFX90A:TG_SPLIT: 0
	.section	.text._ZN7rocprim17ROCPRIM_400000_NS6detail31init_lookback_scan_state_kernelINS1_19lookback_scan_stateIjLb1ELb1EEENS1_16block_id_wrapperIjLb1EEEEEvT_jT0_jPNS7_10value_typeE,"axG",@progbits,_ZN7rocprim17ROCPRIM_400000_NS6detail31init_lookback_scan_state_kernelINS1_19lookback_scan_stateIjLb1ELb1EEENS1_16block_id_wrapperIjLb1EEEEEvT_jT0_jPNS7_10value_typeE,comdat
	.protected	_ZN7rocprim17ROCPRIM_400000_NS6detail31init_lookback_scan_state_kernelINS1_19lookback_scan_stateIjLb1ELb1EEENS1_16block_id_wrapperIjLb1EEEEEvT_jT0_jPNS7_10value_typeE ; -- Begin function _ZN7rocprim17ROCPRIM_400000_NS6detail31init_lookback_scan_state_kernelINS1_19lookback_scan_stateIjLb1ELb1EEENS1_16block_id_wrapperIjLb1EEEEEvT_jT0_jPNS7_10value_typeE
	.globl	_ZN7rocprim17ROCPRIM_400000_NS6detail31init_lookback_scan_state_kernelINS1_19lookback_scan_stateIjLb1ELb1EEENS1_16block_id_wrapperIjLb1EEEEEvT_jT0_jPNS7_10value_typeE
	.p2align	8
	.type	_ZN7rocprim17ROCPRIM_400000_NS6detail31init_lookback_scan_state_kernelINS1_19lookback_scan_stateIjLb1ELb1EEENS1_16block_id_wrapperIjLb1EEEEEvT_jT0_jPNS7_10value_typeE,@function
_ZN7rocprim17ROCPRIM_400000_NS6detail31init_lookback_scan_state_kernelINS1_19lookback_scan_stateIjLb1ELb1EEENS1_16block_id_wrapperIjLb1EEEEEvT_jT0_jPNS7_10value_typeE: ; @_ZN7rocprim17ROCPRIM_400000_NS6detail31init_lookback_scan_state_kernelINS1_19lookback_scan_stateIjLb1ELb1EEENS1_16block_id_wrapperIjLb1EEEEEvT_jT0_jPNS7_10value_typeE
; %bb.0:
	s_load_dword s3, s[0:1], 0x34
	s_load_dwordx2 s[6:7], s[0:1], 0x20
	s_load_dwordx2 s[4:5], s[0:1], 0x0
	s_load_dword s10, s[0:1], 0x8
	s_waitcnt lgkmcnt(0)
	s_and_b32 s3, s3, 0xffff
	s_mul_i32 s2, s2, s3
	s_cmp_eq_u64 s[6:7], 0
	v_add_u32_e32 v0, s2, v0
	s_cbranch_scc1 .LBB17_9
; %bb.1:
	s_load_dword s8, s[0:1], 0x18
	s_mov_b32 s9, 0
	s_waitcnt lgkmcnt(0)
	s_cmp_lt_u32 s8, s10
	s_cselect_b32 s2, s8, 0
	v_cmp_eq_u32_e32 vcc, s2, v0
	s_and_saveexec_b64 s[2:3], vcc
	s_cbranch_execz .LBB17_8
; %bb.2:
	s_add_i32 s8, s8, 64
	s_lshl_b64 s[8:9], s[8:9], 3
	s_add_u32 s8, s4, s8
	s_addc_u32 s9, s5, s9
	v_mov_b32_e32 v2, 0
	global_load_dwordx2 v[4:5], v2, s[8:9] sc1
	s_waitcnt vmcnt(0)
	v_and_b32_e32 v3, 0xff, v5
	v_cmp_ne_u64_e32 vcc, 0, v[2:3]
	s_cbranch_vccnz .LBB17_7
; %bb.3:
	s_mov_b32 s11, 1
.LBB17_4:                               ; =>This Loop Header: Depth=1
                                        ;     Child Loop BB17_5 Depth 2
	s_max_u32 s12, s11, 1
.LBB17_5:                               ;   Parent Loop BB17_4 Depth=1
                                        ; =>  This Inner Loop Header: Depth=2
	s_add_i32 s12, s12, -1
	s_cmp_eq_u32 s12, 0
	s_sleep 1
	s_cbranch_scc0 .LBB17_5
; %bb.6:                                ;   in Loop: Header=BB17_4 Depth=1
	global_load_dwordx2 v[4:5], v2, s[8:9] sc1
	s_cmp_lt_u32 s11, 32
	s_cselect_b64 s[12:13], -1, 0
	s_cmp_lg_u64 s[12:13], 0
	s_addc_u32 s11, s11, 0
	s_waitcnt vmcnt(0)
	v_and_b32_e32 v3, 0xff, v5
	v_cmp_ne_u64_e32 vcc, 0, v[2:3]
	s_cbranch_vccz .LBB17_4
.LBB17_7:
	v_mov_b32_e32 v1, 0
	global_store_dword v1, v4, s[6:7]
.LBB17_8:
	s_or_b64 exec, exec, s[2:3]
.LBB17_9:
	v_cmp_eq_u32_e32 vcc, 0, v0
	s_and_saveexec_b64 s[2:3], vcc
	s_cbranch_execnz .LBB17_13
; %bb.10:
	s_or_b64 exec, exec, s[2:3]
	v_cmp_gt_u32_e32 vcc, s10, v0
	s_and_saveexec_b64 s[0:1], vcc
	s_cbranch_execnz .LBB17_14
.LBB17_11:
	s_or_b64 exec, exec, s[0:1]
	v_cmp_gt_u32_e32 vcc, 64, v0
	s_and_saveexec_b64 s[0:1], vcc
	s_cbranch_execnz .LBB17_15
.LBB17_12:
	s_endpgm
.LBB17_13:
	s_load_dwordx2 s[0:1], s[0:1], 0x10
	v_mov_b32_e32 v1, 0
	s_waitcnt lgkmcnt(0)
	global_store_dword v1, v1, s[0:1]
	s_or_b64 exec, exec, s[2:3]
	v_cmp_gt_u32_e32 vcc, s10, v0
	s_and_saveexec_b64 s[0:1], vcc
	s_cbranch_execz .LBB17_11
.LBB17_14:
	v_add_u32_e32 v2, 64, v0
	v_mov_b32_e32 v3, 0
	v_lshl_add_u64 v[4:5], v[2:3], 3, s[4:5]
	v_mov_b32_e32 v2, v3
	global_store_dwordx2 v[4:5], v[2:3], off
	s_or_b64 exec, exec, s[0:1]
	v_cmp_gt_u32_e32 vcc, 64, v0
	s_and_saveexec_b64 s[0:1], vcc
	s_cbranch_execz .LBB17_12
.LBB17_15:
	v_mov_b32_e32 v1, 0
	v_lshl_add_u64 v[2:3], v[0:1], 3, s[4:5]
	v_mov_b32_e32 v5, 0xff
	v_mov_b32_e32 v4, v1
	global_store_dwordx2 v[2:3], v[4:5], off
	s_endpgm
	.section	.rodata,"a",@progbits
	.p2align	6, 0x0
	.amdhsa_kernel _ZN7rocprim17ROCPRIM_400000_NS6detail31init_lookback_scan_state_kernelINS1_19lookback_scan_stateIjLb1ELb1EEENS1_16block_id_wrapperIjLb1EEEEEvT_jT0_jPNS7_10value_typeE
		.amdhsa_group_segment_fixed_size 0
		.amdhsa_private_segment_fixed_size 0
		.amdhsa_kernarg_size 296
		.amdhsa_user_sgpr_count 2
		.amdhsa_user_sgpr_dispatch_ptr 0
		.amdhsa_user_sgpr_queue_ptr 0
		.amdhsa_user_sgpr_kernarg_segment_ptr 1
		.amdhsa_user_sgpr_dispatch_id 0
		.amdhsa_user_sgpr_kernarg_preload_length 0
		.amdhsa_user_sgpr_kernarg_preload_offset 0
		.amdhsa_user_sgpr_private_segment_size 0
		.amdhsa_uses_dynamic_stack 0
		.amdhsa_enable_private_segment 0
		.amdhsa_system_sgpr_workgroup_id_x 1
		.amdhsa_system_sgpr_workgroup_id_y 0
		.amdhsa_system_sgpr_workgroup_id_z 0
		.amdhsa_system_sgpr_workgroup_info 0
		.amdhsa_system_vgpr_workitem_id 0
		.amdhsa_next_free_vgpr 6
		.amdhsa_next_free_sgpr 14
		.amdhsa_accum_offset 8
		.amdhsa_reserve_vcc 1
		.amdhsa_float_round_mode_32 0
		.amdhsa_float_round_mode_16_64 0
		.amdhsa_float_denorm_mode_32 3
		.amdhsa_float_denorm_mode_16_64 3
		.amdhsa_dx10_clamp 1
		.amdhsa_ieee_mode 1
		.amdhsa_fp16_overflow 0
		.amdhsa_tg_split 0
		.amdhsa_exception_fp_ieee_invalid_op 0
		.amdhsa_exception_fp_denorm_src 0
		.amdhsa_exception_fp_ieee_div_zero 0
		.amdhsa_exception_fp_ieee_overflow 0
		.amdhsa_exception_fp_ieee_underflow 0
		.amdhsa_exception_fp_ieee_inexact 0
		.amdhsa_exception_int_div_zero 0
	.end_amdhsa_kernel
	.section	.text._ZN7rocprim17ROCPRIM_400000_NS6detail31init_lookback_scan_state_kernelINS1_19lookback_scan_stateIjLb1ELb1EEENS1_16block_id_wrapperIjLb1EEEEEvT_jT0_jPNS7_10value_typeE,"axG",@progbits,_ZN7rocprim17ROCPRIM_400000_NS6detail31init_lookback_scan_state_kernelINS1_19lookback_scan_stateIjLb1ELb1EEENS1_16block_id_wrapperIjLb1EEEEEvT_jT0_jPNS7_10value_typeE,comdat
.Lfunc_end17:
	.size	_ZN7rocprim17ROCPRIM_400000_NS6detail31init_lookback_scan_state_kernelINS1_19lookback_scan_stateIjLb1ELb1EEENS1_16block_id_wrapperIjLb1EEEEEvT_jT0_jPNS7_10value_typeE, .Lfunc_end17-_ZN7rocprim17ROCPRIM_400000_NS6detail31init_lookback_scan_state_kernelINS1_19lookback_scan_stateIjLb1ELb1EEENS1_16block_id_wrapperIjLb1EEEEEvT_jT0_jPNS7_10value_typeE
                                        ; -- End function
	.section	.AMDGPU.csdata,"",@progbits
; Kernel info:
; codeLenInByte = 396
; NumSgprs: 20
; NumVgprs: 6
; NumAgprs: 0
; TotalNumVgprs: 6
; ScratchSize: 0
; MemoryBound: 0
; FloatMode: 240
; IeeeMode: 1
; LDSByteSize: 0 bytes/workgroup (compile time only)
; SGPRBlocks: 2
; VGPRBlocks: 0
; NumSGPRsForWavesPerEU: 20
; NumVGPRsForWavesPerEU: 6
; AccumOffset: 8
; Occupancy: 8
; WaveLimiterHint : 0
; COMPUTE_PGM_RSRC2:SCRATCH_EN: 0
; COMPUTE_PGM_RSRC2:USER_SGPR: 2
; COMPUTE_PGM_RSRC2:TRAP_HANDLER: 0
; COMPUTE_PGM_RSRC2:TGID_X_EN: 1
; COMPUTE_PGM_RSRC2:TGID_Y_EN: 0
; COMPUTE_PGM_RSRC2:TGID_Z_EN: 0
; COMPUTE_PGM_RSRC2:TIDIG_COMP_CNT: 0
; COMPUTE_PGM_RSRC3_GFX90A:ACCUM_OFFSET: 1
; COMPUTE_PGM_RSRC3_GFX90A:TG_SPLIT: 0
	.section	.text._ZN7rocprim17ROCPRIM_400000_NS6detail17trampoline_kernelINS0_14default_configENS1_25partition_config_selectorILNS1_17partition_subalgoE9EiibEEZZNS1_14partition_implILS5_9ELb0ES3_jPKiN6thrust23THRUST_200600_302600_NS17counting_iteratorIiNSB_11use_defaultESD_SD_EEPNS0_10empty_typeENS0_5tupleIJPiSF_EEENSH_IJSI_SG_EEENS0_18inequality_wrapperIN6hipcub16HIPCUB_304000_NS8EqualityEEEPlJSF_EEE10hipError_tPvRmT3_T4_T5_T6_T7_T9_mT8_P12ihipStream_tbDpT10_ENKUlT_T0_E_clISt17integral_constantIbLb1EES1A_EEDaS15_S16_EUlS15_E_NS1_11comp_targetILNS1_3genE0ELNS1_11target_archE4294967295ELNS1_3gpuE0ELNS1_3repE0EEENS1_30default_config_static_selectorELNS0_4arch9wavefront6targetE1EEEvT1_,"axG",@progbits,_ZN7rocprim17ROCPRIM_400000_NS6detail17trampoline_kernelINS0_14default_configENS1_25partition_config_selectorILNS1_17partition_subalgoE9EiibEEZZNS1_14partition_implILS5_9ELb0ES3_jPKiN6thrust23THRUST_200600_302600_NS17counting_iteratorIiNSB_11use_defaultESD_SD_EEPNS0_10empty_typeENS0_5tupleIJPiSF_EEENSH_IJSI_SG_EEENS0_18inequality_wrapperIN6hipcub16HIPCUB_304000_NS8EqualityEEEPlJSF_EEE10hipError_tPvRmT3_T4_T5_T6_T7_T9_mT8_P12ihipStream_tbDpT10_ENKUlT_T0_E_clISt17integral_constantIbLb1EES1A_EEDaS15_S16_EUlS15_E_NS1_11comp_targetILNS1_3genE0ELNS1_11target_archE4294967295ELNS1_3gpuE0ELNS1_3repE0EEENS1_30default_config_static_selectorELNS0_4arch9wavefront6targetE1EEEvT1_,comdat
	.protected	_ZN7rocprim17ROCPRIM_400000_NS6detail17trampoline_kernelINS0_14default_configENS1_25partition_config_selectorILNS1_17partition_subalgoE9EiibEEZZNS1_14partition_implILS5_9ELb0ES3_jPKiN6thrust23THRUST_200600_302600_NS17counting_iteratorIiNSB_11use_defaultESD_SD_EEPNS0_10empty_typeENS0_5tupleIJPiSF_EEENSH_IJSI_SG_EEENS0_18inequality_wrapperIN6hipcub16HIPCUB_304000_NS8EqualityEEEPlJSF_EEE10hipError_tPvRmT3_T4_T5_T6_T7_T9_mT8_P12ihipStream_tbDpT10_ENKUlT_T0_E_clISt17integral_constantIbLb1EES1A_EEDaS15_S16_EUlS15_E_NS1_11comp_targetILNS1_3genE0ELNS1_11target_archE4294967295ELNS1_3gpuE0ELNS1_3repE0EEENS1_30default_config_static_selectorELNS0_4arch9wavefront6targetE1EEEvT1_ ; -- Begin function _ZN7rocprim17ROCPRIM_400000_NS6detail17trampoline_kernelINS0_14default_configENS1_25partition_config_selectorILNS1_17partition_subalgoE9EiibEEZZNS1_14partition_implILS5_9ELb0ES3_jPKiN6thrust23THRUST_200600_302600_NS17counting_iteratorIiNSB_11use_defaultESD_SD_EEPNS0_10empty_typeENS0_5tupleIJPiSF_EEENSH_IJSI_SG_EEENS0_18inequality_wrapperIN6hipcub16HIPCUB_304000_NS8EqualityEEEPlJSF_EEE10hipError_tPvRmT3_T4_T5_T6_T7_T9_mT8_P12ihipStream_tbDpT10_ENKUlT_T0_E_clISt17integral_constantIbLb1EES1A_EEDaS15_S16_EUlS15_E_NS1_11comp_targetILNS1_3genE0ELNS1_11target_archE4294967295ELNS1_3gpuE0ELNS1_3repE0EEENS1_30default_config_static_selectorELNS0_4arch9wavefront6targetE1EEEvT1_
	.globl	_ZN7rocprim17ROCPRIM_400000_NS6detail17trampoline_kernelINS0_14default_configENS1_25partition_config_selectorILNS1_17partition_subalgoE9EiibEEZZNS1_14partition_implILS5_9ELb0ES3_jPKiN6thrust23THRUST_200600_302600_NS17counting_iteratorIiNSB_11use_defaultESD_SD_EEPNS0_10empty_typeENS0_5tupleIJPiSF_EEENSH_IJSI_SG_EEENS0_18inequality_wrapperIN6hipcub16HIPCUB_304000_NS8EqualityEEEPlJSF_EEE10hipError_tPvRmT3_T4_T5_T6_T7_T9_mT8_P12ihipStream_tbDpT10_ENKUlT_T0_E_clISt17integral_constantIbLb1EES1A_EEDaS15_S16_EUlS15_E_NS1_11comp_targetILNS1_3genE0ELNS1_11target_archE4294967295ELNS1_3gpuE0ELNS1_3repE0EEENS1_30default_config_static_selectorELNS0_4arch9wavefront6targetE1EEEvT1_
	.p2align	8
	.type	_ZN7rocprim17ROCPRIM_400000_NS6detail17trampoline_kernelINS0_14default_configENS1_25partition_config_selectorILNS1_17partition_subalgoE9EiibEEZZNS1_14partition_implILS5_9ELb0ES3_jPKiN6thrust23THRUST_200600_302600_NS17counting_iteratorIiNSB_11use_defaultESD_SD_EEPNS0_10empty_typeENS0_5tupleIJPiSF_EEENSH_IJSI_SG_EEENS0_18inequality_wrapperIN6hipcub16HIPCUB_304000_NS8EqualityEEEPlJSF_EEE10hipError_tPvRmT3_T4_T5_T6_T7_T9_mT8_P12ihipStream_tbDpT10_ENKUlT_T0_E_clISt17integral_constantIbLb1EES1A_EEDaS15_S16_EUlS15_E_NS1_11comp_targetILNS1_3genE0ELNS1_11target_archE4294967295ELNS1_3gpuE0ELNS1_3repE0EEENS1_30default_config_static_selectorELNS0_4arch9wavefront6targetE1EEEvT1_,@function
_ZN7rocprim17ROCPRIM_400000_NS6detail17trampoline_kernelINS0_14default_configENS1_25partition_config_selectorILNS1_17partition_subalgoE9EiibEEZZNS1_14partition_implILS5_9ELb0ES3_jPKiN6thrust23THRUST_200600_302600_NS17counting_iteratorIiNSB_11use_defaultESD_SD_EEPNS0_10empty_typeENS0_5tupleIJPiSF_EEENSH_IJSI_SG_EEENS0_18inequality_wrapperIN6hipcub16HIPCUB_304000_NS8EqualityEEEPlJSF_EEE10hipError_tPvRmT3_T4_T5_T6_T7_T9_mT8_P12ihipStream_tbDpT10_ENKUlT_T0_E_clISt17integral_constantIbLb1EES1A_EEDaS15_S16_EUlS15_E_NS1_11comp_targetILNS1_3genE0ELNS1_11target_archE4294967295ELNS1_3gpuE0ELNS1_3repE0EEENS1_30default_config_static_selectorELNS0_4arch9wavefront6targetE1EEEvT1_: ; @_ZN7rocprim17ROCPRIM_400000_NS6detail17trampoline_kernelINS0_14default_configENS1_25partition_config_selectorILNS1_17partition_subalgoE9EiibEEZZNS1_14partition_implILS5_9ELb0ES3_jPKiN6thrust23THRUST_200600_302600_NS17counting_iteratorIiNSB_11use_defaultESD_SD_EEPNS0_10empty_typeENS0_5tupleIJPiSF_EEENSH_IJSI_SG_EEENS0_18inequality_wrapperIN6hipcub16HIPCUB_304000_NS8EqualityEEEPlJSF_EEE10hipError_tPvRmT3_T4_T5_T6_T7_T9_mT8_P12ihipStream_tbDpT10_ENKUlT_T0_E_clISt17integral_constantIbLb1EES1A_EEDaS15_S16_EUlS15_E_NS1_11comp_targetILNS1_3genE0ELNS1_11target_archE4294967295ELNS1_3gpuE0ELNS1_3repE0EEENS1_30default_config_static_selectorELNS0_4arch9wavefront6targetE1EEEvT1_
; %bb.0:
	.section	.rodata,"a",@progbits
	.p2align	6, 0x0
	.amdhsa_kernel _ZN7rocprim17ROCPRIM_400000_NS6detail17trampoline_kernelINS0_14default_configENS1_25partition_config_selectorILNS1_17partition_subalgoE9EiibEEZZNS1_14partition_implILS5_9ELb0ES3_jPKiN6thrust23THRUST_200600_302600_NS17counting_iteratorIiNSB_11use_defaultESD_SD_EEPNS0_10empty_typeENS0_5tupleIJPiSF_EEENSH_IJSI_SG_EEENS0_18inequality_wrapperIN6hipcub16HIPCUB_304000_NS8EqualityEEEPlJSF_EEE10hipError_tPvRmT3_T4_T5_T6_T7_T9_mT8_P12ihipStream_tbDpT10_ENKUlT_T0_E_clISt17integral_constantIbLb1EES1A_EEDaS15_S16_EUlS15_E_NS1_11comp_targetILNS1_3genE0ELNS1_11target_archE4294967295ELNS1_3gpuE0ELNS1_3repE0EEENS1_30default_config_static_selectorELNS0_4arch9wavefront6targetE1EEEvT1_
		.amdhsa_group_segment_fixed_size 0
		.amdhsa_private_segment_fixed_size 0
		.amdhsa_kernarg_size 128
		.amdhsa_user_sgpr_count 2
		.amdhsa_user_sgpr_dispatch_ptr 0
		.amdhsa_user_sgpr_queue_ptr 0
		.amdhsa_user_sgpr_kernarg_segment_ptr 1
		.amdhsa_user_sgpr_dispatch_id 0
		.amdhsa_user_sgpr_kernarg_preload_length 0
		.amdhsa_user_sgpr_kernarg_preload_offset 0
		.amdhsa_user_sgpr_private_segment_size 0
		.amdhsa_uses_dynamic_stack 0
		.amdhsa_enable_private_segment 0
		.amdhsa_system_sgpr_workgroup_id_x 1
		.amdhsa_system_sgpr_workgroup_id_y 0
		.amdhsa_system_sgpr_workgroup_id_z 0
		.amdhsa_system_sgpr_workgroup_info 0
		.amdhsa_system_vgpr_workitem_id 0
		.amdhsa_next_free_vgpr 1
		.amdhsa_next_free_sgpr 0
		.amdhsa_accum_offset 4
		.amdhsa_reserve_vcc 0
		.amdhsa_float_round_mode_32 0
		.amdhsa_float_round_mode_16_64 0
		.amdhsa_float_denorm_mode_32 3
		.amdhsa_float_denorm_mode_16_64 3
		.amdhsa_dx10_clamp 1
		.amdhsa_ieee_mode 1
		.amdhsa_fp16_overflow 0
		.amdhsa_tg_split 0
		.amdhsa_exception_fp_ieee_invalid_op 0
		.amdhsa_exception_fp_denorm_src 0
		.amdhsa_exception_fp_ieee_div_zero 0
		.amdhsa_exception_fp_ieee_overflow 0
		.amdhsa_exception_fp_ieee_underflow 0
		.amdhsa_exception_fp_ieee_inexact 0
		.amdhsa_exception_int_div_zero 0
	.end_amdhsa_kernel
	.section	.text._ZN7rocprim17ROCPRIM_400000_NS6detail17trampoline_kernelINS0_14default_configENS1_25partition_config_selectorILNS1_17partition_subalgoE9EiibEEZZNS1_14partition_implILS5_9ELb0ES3_jPKiN6thrust23THRUST_200600_302600_NS17counting_iteratorIiNSB_11use_defaultESD_SD_EEPNS0_10empty_typeENS0_5tupleIJPiSF_EEENSH_IJSI_SG_EEENS0_18inequality_wrapperIN6hipcub16HIPCUB_304000_NS8EqualityEEEPlJSF_EEE10hipError_tPvRmT3_T4_T5_T6_T7_T9_mT8_P12ihipStream_tbDpT10_ENKUlT_T0_E_clISt17integral_constantIbLb1EES1A_EEDaS15_S16_EUlS15_E_NS1_11comp_targetILNS1_3genE0ELNS1_11target_archE4294967295ELNS1_3gpuE0ELNS1_3repE0EEENS1_30default_config_static_selectorELNS0_4arch9wavefront6targetE1EEEvT1_,"axG",@progbits,_ZN7rocprim17ROCPRIM_400000_NS6detail17trampoline_kernelINS0_14default_configENS1_25partition_config_selectorILNS1_17partition_subalgoE9EiibEEZZNS1_14partition_implILS5_9ELb0ES3_jPKiN6thrust23THRUST_200600_302600_NS17counting_iteratorIiNSB_11use_defaultESD_SD_EEPNS0_10empty_typeENS0_5tupleIJPiSF_EEENSH_IJSI_SG_EEENS0_18inequality_wrapperIN6hipcub16HIPCUB_304000_NS8EqualityEEEPlJSF_EEE10hipError_tPvRmT3_T4_T5_T6_T7_T9_mT8_P12ihipStream_tbDpT10_ENKUlT_T0_E_clISt17integral_constantIbLb1EES1A_EEDaS15_S16_EUlS15_E_NS1_11comp_targetILNS1_3genE0ELNS1_11target_archE4294967295ELNS1_3gpuE0ELNS1_3repE0EEENS1_30default_config_static_selectorELNS0_4arch9wavefront6targetE1EEEvT1_,comdat
.Lfunc_end18:
	.size	_ZN7rocprim17ROCPRIM_400000_NS6detail17trampoline_kernelINS0_14default_configENS1_25partition_config_selectorILNS1_17partition_subalgoE9EiibEEZZNS1_14partition_implILS5_9ELb0ES3_jPKiN6thrust23THRUST_200600_302600_NS17counting_iteratorIiNSB_11use_defaultESD_SD_EEPNS0_10empty_typeENS0_5tupleIJPiSF_EEENSH_IJSI_SG_EEENS0_18inequality_wrapperIN6hipcub16HIPCUB_304000_NS8EqualityEEEPlJSF_EEE10hipError_tPvRmT3_T4_T5_T6_T7_T9_mT8_P12ihipStream_tbDpT10_ENKUlT_T0_E_clISt17integral_constantIbLb1EES1A_EEDaS15_S16_EUlS15_E_NS1_11comp_targetILNS1_3genE0ELNS1_11target_archE4294967295ELNS1_3gpuE0ELNS1_3repE0EEENS1_30default_config_static_selectorELNS0_4arch9wavefront6targetE1EEEvT1_, .Lfunc_end18-_ZN7rocprim17ROCPRIM_400000_NS6detail17trampoline_kernelINS0_14default_configENS1_25partition_config_selectorILNS1_17partition_subalgoE9EiibEEZZNS1_14partition_implILS5_9ELb0ES3_jPKiN6thrust23THRUST_200600_302600_NS17counting_iteratorIiNSB_11use_defaultESD_SD_EEPNS0_10empty_typeENS0_5tupleIJPiSF_EEENSH_IJSI_SG_EEENS0_18inequality_wrapperIN6hipcub16HIPCUB_304000_NS8EqualityEEEPlJSF_EEE10hipError_tPvRmT3_T4_T5_T6_T7_T9_mT8_P12ihipStream_tbDpT10_ENKUlT_T0_E_clISt17integral_constantIbLb1EES1A_EEDaS15_S16_EUlS15_E_NS1_11comp_targetILNS1_3genE0ELNS1_11target_archE4294967295ELNS1_3gpuE0ELNS1_3repE0EEENS1_30default_config_static_selectorELNS0_4arch9wavefront6targetE1EEEvT1_
                                        ; -- End function
	.section	.AMDGPU.csdata,"",@progbits
; Kernel info:
; codeLenInByte = 0
; NumSgprs: 6
; NumVgprs: 0
; NumAgprs: 0
; TotalNumVgprs: 0
; ScratchSize: 0
; MemoryBound: 0
; FloatMode: 240
; IeeeMode: 1
; LDSByteSize: 0 bytes/workgroup (compile time only)
; SGPRBlocks: 0
; VGPRBlocks: 0
; NumSGPRsForWavesPerEU: 6
; NumVGPRsForWavesPerEU: 1
; AccumOffset: 4
; Occupancy: 8
; WaveLimiterHint : 0
; COMPUTE_PGM_RSRC2:SCRATCH_EN: 0
; COMPUTE_PGM_RSRC2:USER_SGPR: 2
; COMPUTE_PGM_RSRC2:TRAP_HANDLER: 0
; COMPUTE_PGM_RSRC2:TGID_X_EN: 1
; COMPUTE_PGM_RSRC2:TGID_Y_EN: 0
; COMPUTE_PGM_RSRC2:TGID_Z_EN: 0
; COMPUTE_PGM_RSRC2:TIDIG_COMP_CNT: 0
; COMPUTE_PGM_RSRC3_GFX90A:ACCUM_OFFSET: 0
; COMPUTE_PGM_RSRC3_GFX90A:TG_SPLIT: 0
	.section	.text._ZN7rocprim17ROCPRIM_400000_NS6detail17trampoline_kernelINS0_14default_configENS1_25partition_config_selectorILNS1_17partition_subalgoE9EiibEEZZNS1_14partition_implILS5_9ELb0ES3_jPKiN6thrust23THRUST_200600_302600_NS17counting_iteratorIiNSB_11use_defaultESD_SD_EEPNS0_10empty_typeENS0_5tupleIJPiSF_EEENSH_IJSI_SG_EEENS0_18inequality_wrapperIN6hipcub16HIPCUB_304000_NS8EqualityEEEPlJSF_EEE10hipError_tPvRmT3_T4_T5_T6_T7_T9_mT8_P12ihipStream_tbDpT10_ENKUlT_T0_E_clISt17integral_constantIbLb1EES1A_EEDaS15_S16_EUlS15_E_NS1_11comp_targetILNS1_3genE5ELNS1_11target_archE942ELNS1_3gpuE9ELNS1_3repE0EEENS1_30default_config_static_selectorELNS0_4arch9wavefront6targetE1EEEvT1_,"axG",@progbits,_ZN7rocprim17ROCPRIM_400000_NS6detail17trampoline_kernelINS0_14default_configENS1_25partition_config_selectorILNS1_17partition_subalgoE9EiibEEZZNS1_14partition_implILS5_9ELb0ES3_jPKiN6thrust23THRUST_200600_302600_NS17counting_iteratorIiNSB_11use_defaultESD_SD_EEPNS0_10empty_typeENS0_5tupleIJPiSF_EEENSH_IJSI_SG_EEENS0_18inequality_wrapperIN6hipcub16HIPCUB_304000_NS8EqualityEEEPlJSF_EEE10hipError_tPvRmT3_T4_T5_T6_T7_T9_mT8_P12ihipStream_tbDpT10_ENKUlT_T0_E_clISt17integral_constantIbLb1EES1A_EEDaS15_S16_EUlS15_E_NS1_11comp_targetILNS1_3genE5ELNS1_11target_archE942ELNS1_3gpuE9ELNS1_3repE0EEENS1_30default_config_static_selectorELNS0_4arch9wavefront6targetE1EEEvT1_,comdat
	.protected	_ZN7rocprim17ROCPRIM_400000_NS6detail17trampoline_kernelINS0_14default_configENS1_25partition_config_selectorILNS1_17partition_subalgoE9EiibEEZZNS1_14partition_implILS5_9ELb0ES3_jPKiN6thrust23THRUST_200600_302600_NS17counting_iteratorIiNSB_11use_defaultESD_SD_EEPNS0_10empty_typeENS0_5tupleIJPiSF_EEENSH_IJSI_SG_EEENS0_18inequality_wrapperIN6hipcub16HIPCUB_304000_NS8EqualityEEEPlJSF_EEE10hipError_tPvRmT3_T4_T5_T6_T7_T9_mT8_P12ihipStream_tbDpT10_ENKUlT_T0_E_clISt17integral_constantIbLb1EES1A_EEDaS15_S16_EUlS15_E_NS1_11comp_targetILNS1_3genE5ELNS1_11target_archE942ELNS1_3gpuE9ELNS1_3repE0EEENS1_30default_config_static_selectorELNS0_4arch9wavefront6targetE1EEEvT1_ ; -- Begin function _ZN7rocprim17ROCPRIM_400000_NS6detail17trampoline_kernelINS0_14default_configENS1_25partition_config_selectorILNS1_17partition_subalgoE9EiibEEZZNS1_14partition_implILS5_9ELb0ES3_jPKiN6thrust23THRUST_200600_302600_NS17counting_iteratorIiNSB_11use_defaultESD_SD_EEPNS0_10empty_typeENS0_5tupleIJPiSF_EEENSH_IJSI_SG_EEENS0_18inequality_wrapperIN6hipcub16HIPCUB_304000_NS8EqualityEEEPlJSF_EEE10hipError_tPvRmT3_T4_T5_T6_T7_T9_mT8_P12ihipStream_tbDpT10_ENKUlT_T0_E_clISt17integral_constantIbLb1EES1A_EEDaS15_S16_EUlS15_E_NS1_11comp_targetILNS1_3genE5ELNS1_11target_archE942ELNS1_3gpuE9ELNS1_3repE0EEENS1_30default_config_static_selectorELNS0_4arch9wavefront6targetE1EEEvT1_
	.globl	_ZN7rocprim17ROCPRIM_400000_NS6detail17trampoline_kernelINS0_14default_configENS1_25partition_config_selectorILNS1_17partition_subalgoE9EiibEEZZNS1_14partition_implILS5_9ELb0ES3_jPKiN6thrust23THRUST_200600_302600_NS17counting_iteratorIiNSB_11use_defaultESD_SD_EEPNS0_10empty_typeENS0_5tupleIJPiSF_EEENSH_IJSI_SG_EEENS0_18inequality_wrapperIN6hipcub16HIPCUB_304000_NS8EqualityEEEPlJSF_EEE10hipError_tPvRmT3_T4_T5_T6_T7_T9_mT8_P12ihipStream_tbDpT10_ENKUlT_T0_E_clISt17integral_constantIbLb1EES1A_EEDaS15_S16_EUlS15_E_NS1_11comp_targetILNS1_3genE5ELNS1_11target_archE942ELNS1_3gpuE9ELNS1_3repE0EEENS1_30default_config_static_selectorELNS0_4arch9wavefront6targetE1EEEvT1_
	.p2align	8
	.type	_ZN7rocprim17ROCPRIM_400000_NS6detail17trampoline_kernelINS0_14default_configENS1_25partition_config_selectorILNS1_17partition_subalgoE9EiibEEZZNS1_14partition_implILS5_9ELb0ES3_jPKiN6thrust23THRUST_200600_302600_NS17counting_iteratorIiNSB_11use_defaultESD_SD_EEPNS0_10empty_typeENS0_5tupleIJPiSF_EEENSH_IJSI_SG_EEENS0_18inequality_wrapperIN6hipcub16HIPCUB_304000_NS8EqualityEEEPlJSF_EEE10hipError_tPvRmT3_T4_T5_T6_T7_T9_mT8_P12ihipStream_tbDpT10_ENKUlT_T0_E_clISt17integral_constantIbLb1EES1A_EEDaS15_S16_EUlS15_E_NS1_11comp_targetILNS1_3genE5ELNS1_11target_archE942ELNS1_3gpuE9ELNS1_3repE0EEENS1_30default_config_static_selectorELNS0_4arch9wavefront6targetE1EEEvT1_,@function
_ZN7rocprim17ROCPRIM_400000_NS6detail17trampoline_kernelINS0_14default_configENS1_25partition_config_selectorILNS1_17partition_subalgoE9EiibEEZZNS1_14partition_implILS5_9ELb0ES3_jPKiN6thrust23THRUST_200600_302600_NS17counting_iteratorIiNSB_11use_defaultESD_SD_EEPNS0_10empty_typeENS0_5tupleIJPiSF_EEENSH_IJSI_SG_EEENS0_18inequality_wrapperIN6hipcub16HIPCUB_304000_NS8EqualityEEEPlJSF_EEE10hipError_tPvRmT3_T4_T5_T6_T7_T9_mT8_P12ihipStream_tbDpT10_ENKUlT_T0_E_clISt17integral_constantIbLb1EES1A_EEDaS15_S16_EUlS15_E_NS1_11comp_targetILNS1_3genE5ELNS1_11target_archE942ELNS1_3gpuE9ELNS1_3repE0EEENS1_30default_config_static_selectorELNS0_4arch9wavefront6targetE1EEEvT1_: ; @_ZN7rocprim17ROCPRIM_400000_NS6detail17trampoline_kernelINS0_14default_configENS1_25partition_config_selectorILNS1_17partition_subalgoE9EiibEEZZNS1_14partition_implILS5_9ELb0ES3_jPKiN6thrust23THRUST_200600_302600_NS17counting_iteratorIiNSB_11use_defaultESD_SD_EEPNS0_10empty_typeENS0_5tupleIJPiSF_EEENSH_IJSI_SG_EEENS0_18inequality_wrapperIN6hipcub16HIPCUB_304000_NS8EqualityEEEPlJSF_EEE10hipError_tPvRmT3_T4_T5_T6_T7_T9_mT8_P12ihipStream_tbDpT10_ENKUlT_T0_E_clISt17integral_constantIbLb1EES1A_EEDaS15_S16_EUlS15_E_NS1_11comp_targetILNS1_3genE5ELNS1_11target_archE942ELNS1_3gpuE9ELNS1_3repE0EEENS1_30default_config_static_selectorELNS0_4arch9wavefront6targetE1EEEvT1_
; %bb.0:
	s_load_dwordx4 s[36:39], s[0:1], 0x40
	s_load_dwordx2 s[8:9], s[0:1], 0x50
	s_load_dwordx2 s[44:45], s[0:1], 0x60
	v_cmp_ne_u32_e64 s[2:3], 0, v0
	v_cmp_eq_u32_e64 s[18:19], 0, v0
	s_and_saveexec_b64 s[4:5], s[18:19]
	s_cbranch_execz .LBB19_4
; %bb.1:
	s_mov_b64 s[10:11], exec
	v_mbcnt_lo_u32_b32 v1, s10, 0
	v_mbcnt_hi_u32_b32 v1, s11, v1
	v_cmp_eq_u32_e32 vcc, 0, v1
                                        ; implicit-def: $vgpr2
	s_and_saveexec_b64 s[6:7], vcc
	s_cbranch_execz .LBB19_3
; %bb.2:
	s_load_dwordx2 s[12:13], s[0:1], 0x70
	s_bcnt1_i32_b64 s10, s[10:11]
	v_mov_b32_e32 v2, 0
	v_mov_b32_e32 v3, s10
	s_waitcnt lgkmcnt(0)
	global_atomic_add v2, v2, v3, s[12:13] sc0
.LBB19_3:
	s_or_b64 exec, exec, s[6:7]
	s_waitcnt vmcnt(0)
	v_readfirstlane_b32 s6, v2
	v_mov_b32_e32 v2, 0
	s_nop 0
	v_add_u32_e32 v1, s6, v1
	ds_write_b32 v2, v1
.LBB19_4:
	s_or_b64 exec, exec, s[4:5]
	v_mov_b32_e32 v3, 0
	s_load_dwordx4 s[4:7], s[0:1], 0x8
	s_load_dword s10, s[0:1], 0x18
	s_load_dwordx4 s[40:43], s[0:1], 0x28
	s_load_dword s11, s[0:1], 0x68
	s_waitcnt lgkmcnt(0)
	s_barrier
	ds_read_b32 v1, v3
	s_waitcnt lgkmcnt(0)
	s_barrier
	global_load_dwordx2 v[18:19], v3, s[38:39]
	s_lshl_b64 s[0:1], s[6:7], 2
	s_add_u32 s12, s4, s0
	s_mul_i32 s0, s11, 0x1e00
	s_addc_u32 s13, s5, s1
	s_add_i32 s1, s0, s6
	v_mov_b32_e32 v5, s9
	s_add_i32 s9, s11, -1
	s_sub_i32 s52, s8, s1
	s_add_u32 s0, s6, s0
	v_readfirstlane_b32 s33, v1
	s_addc_u32 s1, s7, 0
	v_mov_b32_e32 v4, s8
	s_cmp_eq_u32 s33, s9
	v_cmp_ge_u64_e32 vcc, s[0:1], v[4:5]
	s_cselect_b64 s[34:35], -1, 0
	s_mul_i32 s4, s33, 0x1e00
	s_mov_b32 s5, 0
	s_and_b64 s[46:47], vcc, s[34:35]
	s_xor_b64 s[38:39], s[46:47], -1
	s_lshl_b64 s[0:1], s[4:5], 2
	s_add_u32 s0, s12, s0
	s_mov_b64 s[8:9], -1
	s_addc_u32 s1, s13, s1
	s_and_b64 vcc, exec, s[38:39]
	s_cbranch_vccz .LBB19_6
; %bb.5:
	v_lshlrev_b32_e32 v2, 2, v0
	v_lshl_add_u64 v[4:5], s[0:1], 0, v[2:3]
	v_add_co_u32_e32 v6, vcc, 0x1000, v4
	global_load_dword v1, v2, s[0:1]
	global_load_dword v3, v2, s[0:1] offset:2048
	v_addc_co_u32_e32 v7, vcc, 0, v5, vcc
	v_add_co_u32_e32 v8, vcc, 0x2000, v4
	s_mov_b64 s[8:9], 0
	s_nop 0
	v_addc_co_u32_e32 v9, vcc, 0, v5, vcc
	v_add_co_u32_e32 v10, vcc, 0x3000, v4
	s_nop 1
	v_addc_co_u32_e32 v11, vcc, 0, v5, vcc
	v_add_co_u32_e32 v12, vcc, 0x4000, v4
	s_nop 1
	v_addc_co_u32_e32 v13, vcc, 0, v5, vcc
	global_load_dword v14, v[6:7], off
	global_load_dword v15, v[6:7], off offset:2048
	global_load_dword v16, v[8:9], off
	global_load_dword v17, v[8:9], off offset:2048
	;; [unrolled: 2-line block ×4, first 2 shown]
	v_add_co_u32_e32 v6, vcc, 0x5000, v4
	s_nop 1
	v_addc_co_u32_e32 v7, vcc, 0, v5, vcc
	v_add_co_u32_e32 v8, vcc, 0x6000, v4
	s_nop 1
	v_addc_co_u32_e32 v9, vcc, 0, v5, vcc
	global_load_dword v10, v[6:7], off
	global_load_dword v11, v[6:7], off offset:2048
	global_load_dword v12, v[8:9], off
	global_load_dword v13, v[8:9], off offset:2048
	v_add_co_u32_e32 v4, vcc, 0x7000, v4
	s_nop 1
	v_addc_co_u32_e32 v5, vcc, 0, v5, vcc
	global_load_dword v4, v[4:5], off
	s_waitcnt vmcnt(13)
	ds_write2st64_b32 v2, v1, v3 offset1:8
	s_waitcnt vmcnt(11)
	ds_write2st64_b32 v2, v14, v15 offset0:16 offset1:24
	s_waitcnt vmcnt(9)
	ds_write2st64_b32 v2, v16, v17 offset0:32 offset1:40
	;; [unrolled: 2-line block ×6, first 2 shown]
	s_waitcnt vmcnt(0)
	ds_write_b32 v2, v4 offset:28672
	s_waitcnt lgkmcnt(0)
	s_barrier
.LBB19_6:
	s_andn2_b64 vcc, exec, s[8:9]
	s_addk_i32 s52, 0x1e00
	s_cbranch_vccnz .LBB19_38
; %bb.7:
	v_cmp_gt_u32_e32 vcc, s52, v0
                                        ; implicit-def: $vgpr2_vgpr3_vgpr4_vgpr5_vgpr6_vgpr7_vgpr8_vgpr9_vgpr10_vgpr11_vgpr12_vgpr13_vgpr14_vgpr15_vgpr16_vgpr17
	s_and_saveexec_b64 s[8:9], vcc
	s_cbranch_execz .LBB19_9
; %bb.8:
	v_lshlrev_b32_e32 v1, 2, v0
	global_load_dword v2, v1, s[0:1]
.LBB19_9:
	s_or_b64 exec, exec, s[8:9]
	v_or_b32_e32 v1, 0x200, v0
	v_cmp_gt_u32_e32 vcc, s52, v1
	s_and_saveexec_b64 s[8:9], vcc
	s_cbranch_execz .LBB19_11
; %bb.10:
	v_lshlrev_b32_e32 v1, 2, v0
	global_load_dword v3, v1, s[0:1] offset:2048
.LBB19_11:
	s_or_b64 exec, exec, s[8:9]
	v_or_b32_e32 v1, 0x400, v0
	v_cmp_gt_u32_e32 vcc, s52, v1
	s_and_saveexec_b64 s[8:9], vcc
	s_cbranch_execz .LBB19_13
; %bb.12:
	v_lshlrev_b32_e32 v1, 2, v1
	global_load_dword v4, v1, s[0:1]
.LBB19_13:
	s_or_b64 exec, exec, s[8:9]
	v_or_b32_e32 v1, 0x600, v0
	v_cmp_gt_u32_e32 vcc, s52, v1
	s_and_saveexec_b64 s[8:9], vcc
	s_cbranch_execz .LBB19_15
; %bb.14:
	v_lshlrev_b32_e32 v1, 2, v1
	global_load_dword v5, v1, s[0:1]
.LBB19_15:
	;; [unrolled: 9-line block ×13, first 2 shown]
	s_or_b64 exec, exec, s[8:9]
	v_lshlrev_b32_e32 v1, 2, v0
	s_waitcnt vmcnt(0)
	ds_write2st64_b32 v1, v2, v3 offset1:8
	ds_write2st64_b32 v1, v4, v5 offset0:16 offset1:24
	ds_write2st64_b32 v1, v6, v7 offset0:32 offset1:40
	;; [unrolled: 1-line block ×6, first 2 shown]
	ds_write_b32 v1, v16 offset:28672
	s_waitcnt lgkmcnt(0)
	s_barrier
.LBB19_38:
	v_mul_u32_u24_e32 v2, 15, v0
	v_lshlrev_b32_e32 v17, 2, v2
	ds_read2_b32 v[46:47], v17 offset1:1
	ds_read2_b32 v[44:45], v17 offset0:2 offset1:3
	ds_read2_b32 v[42:43], v17 offset0:4 offset1:5
	;; [unrolled: 1-line block ×6, first 2 shown]
	ds_read_b32 v1, v17 offset:56
	s_add_i32 s5, s10, s6
	s_add_i32 s5, s5, s4
	v_add_u32_e32 v3, s5, v0
	s_mov_b64 s[4:5], -1
	s_and_b64 vcc, exec, s[38:39]
	s_waitcnt lgkmcnt(0)
	s_barrier
	s_cbranch_vccz .LBB19_40
; %bb.39:
	v_add_u32_e32 v4, 0x200, v3
	v_lshlrev_b32_e32 v21, 2, v0
	v_add_u32_e32 v5, 0x400, v3
	v_add_u32_e32 v6, 0x600, v3
	;; [unrolled: 1-line block ×13, first 2 shown]
	ds_write2st64_b32 v21, v3, v4 offset1:8
	ds_write2st64_b32 v21, v5, v6 offset0:16 offset1:24
	ds_write2st64_b32 v21, v7, v8 offset0:32 offset1:40
	;; [unrolled: 1-line block ×6, first 2 shown]
	ds_write_b32 v21, v20 offset:28672
	s_waitcnt lgkmcnt(0)
	s_barrier
	s_mov_b64 s[4:5], 0
.LBB19_40:
	s_andn2_b64 vcc, exec, s[4:5]
	s_cbranch_vccnz .LBB19_42
; %bb.41:
	s_movk_i32 s4, 0xffc8
	v_add_u32_e32 v4, 0x200, v3
	v_mad_i32_i24 v21, v0, s4, v17
	v_add_u32_e32 v5, 0x400, v3
	v_add_u32_e32 v6, 0x600, v3
	;; [unrolled: 1-line block ×13, first 2 shown]
	ds_write2st64_b32 v21, v3, v4 offset1:8
	ds_write2st64_b32 v21, v5, v6 offset0:16 offset1:24
	ds_write2st64_b32 v21, v7, v8 offset0:32 offset1:40
	;; [unrolled: 1-line block ×6, first 2 shown]
	ds_write_b32 v21, v20 offset:28672
	s_waitcnt lgkmcnt(0)
	s_barrier
.LBB19_42:
	ds_read2_b32 v[32:33], v17 offset1:1
	ds_read2_b32 v[30:31], v17 offset0:2 offset1:3
	ds_read2_b32 v[28:29], v17 offset0:4 offset1:5
	;; [unrolled: 1-line block ×6, first 2 shown]
	ds_read_b32 v52, v17 offset:56
	s_cmp_lg_u32 s33, 0
	s_cselect_b64 s[48:49], -1, 0
	s_cmp_lg_u64 s[6:7], 0
	s_cselect_b64 s[4:5], -1, 0
	s_or_b64 s[4:5], s[4:5], s[48:49]
	v_add_u32_e32 v16, 1, v2
	v_add_u32_e32 v15, 2, v2
	;; [unrolled: 1-line block ×14, first 2 shown]
	s_mov_b64 s[50:51], 0
	s_and_b64 vcc, exec, s[4:5]
	s_waitcnt lgkmcnt(0)
	s_barrier
	s_cbranch_vccz .LBB19_47
; %bb.43:
	v_mov_b32_e32 v17, 0
	global_load_dword v17, v17, s[0:1] offset:-4
	v_lshlrev_b32_e32 v48, 2, v0
	s_and_b64 vcc, exec, s[38:39]
	ds_write_b32 v48, v1
	s_cbranch_vccz .LBB19_49
; %bb.44:
	s_waitcnt vmcnt(0)
	v_mov_b32_e32 v49, v17
	s_waitcnt lgkmcnt(0)
	s_barrier
	s_and_saveexec_b64 s[0:1], s[2:3]
	s_cbranch_execz .LBB19_46
; %bb.45:
	v_add_u32_e32 v49, -4, v48
	ds_read_b32 v49, v49
.LBB19_46:
	s_or_b64 exec, exec, s[0:1]
	v_cmp_ne_u32_e32 vcc, v35, v1
	s_waitcnt lgkmcnt(0)
	v_cmp_ne_u32_e64 s[0:1], v49, v46
	v_cndmask_b32_e64 v53, 0, 1, vcc
	v_cmp_ne_u32_e32 vcc, v34, v35
	s_nop 1
	v_cndmask_b32_e64 v54, 0, 1, vcc
	v_cmp_ne_u32_e32 vcc, v37, v34
	s_nop 1
	;; [unrolled: 3-line block ×13, first 2 shown]
	v_cndmask_b32_e64 v66, 0, 1, vcc
	s_branch .LBB19_53
.LBB19_47:
                                        ; implicit-def: $sgpr0_sgpr1
                                        ; implicit-def: $vgpr53
                                        ; implicit-def: $vgpr54
                                        ; implicit-def: $vgpr55
                                        ; implicit-def: $vgpr56
                                        ; implicit-def: $vgpr57
                                        ; implicit-def: $vgpr58
                                        ; implicit-def: $vgpr59
                                        ; implicit-def: $vgpr66
                                        ; implicit-def: $vgpr65
                                        ; implicit-def: $vgpr64
                                        ; implicit-def: $vgpr63
                                        ; implicit-def: $vgpr62
                                        ; implicit-def: $vgpr61
                                        ; implicit-def: $vgpr60
	s_branch .LBB19_54
.LBB19_48:
                                        ; implicit-def: $sgpr6
	s_branch .LBB19_62
.LBB19_49:
                                        ; implicit-def: $sgpr0_sgpr1
                                        ; implicit-def: $vgpr53
                                        ; implicit-def: $vgpr54
                                        ; implicit-def: $vgpr55
                                        ; implicit-def: $vgpr56
                                        ; implicit-def: $vgpr57
                                        ; implicit-def: $vgpr58
                                        ; implicit-def: $vgpr59
                                        ; implicit-def: $vgpr66
                                        ; implicit-def: $vgpr65
                                        ; implicit-def: $vgpr64
                                        ; implicit-def: $vgpr63
                                        ; implicit-def: $vgpr62
                                        ; implicit-def: $vgpr61
                                        ; implicit-def: $vgpr60
	s_cbranch_execz .LBB19_53
; %bb.50:
	s_waitcnt lgkmcnt(0)
	s_barrier
	s_and_saveexec_b64 s[0:1], s[2:3]
	s_cbranch_execz .LBB19_52
; %bb.51:
	s_waitcnt vmcnt(0)
	v_add_u32_e32 v17, -4, v48
	ds_read_b32 v17, v17
.LBB19_52:
	s_or_b64 exec, exec, s[0:1]
	v_cmp_gt_u32_e32 vcc, s52, v3
	v_cmp_ne_u32_e64 s[0:1], v35, v1
	s_and_b64 s[0:1], vcc, s[0:1]
	v_cmp_gt_u32_e32 vcc, s52, v4
	v_cndmask_b32_e64 v53, 0, 1, s[0:1]
	v_cmp_ne_u32_e64 s[0:1], v34, v35
	s_and_b64 s[0:1], vcc, s[0:1]
	v_cmp_gt_u32_e32 vcc, s52, v5
	v_cndmask_b32_e64 v54, 0, 1, s[0:1]
	;; [unrolled: 4-line block ×14, first 2 shown]
	s_waitcnt vmcnt(0) lgkmcnt(0)
	v_cmp_ne_u32_e64 s[0:1], v17, v46
	s_and_b64 s[0:1], vcc, s[0:1]
.LBB19_53:
	s_mov_b64 s[50:51], -1
	s_cbranch_execnz .LBB19_48
.LBB19_54:
	s_waitcnt vmcnt(0)
	v_lshlrev_b32_e32 v17, 2, v0
	s_and_b64 vcc, exec, s[38:39]
	v_cmp_ne_u32_e64 s[0:1], v35, v1
	v_cmp_ne_u32_e64 s[4:5], v34, v35
	;; [unrolled: 1-line block ×14, first 2 shown]
	ds_write_b32 v17, v1
	s_cbranch_vccz .LBB19_58
; %bb.55:
	v_cndmask_b32_e64 v53, 0, 1, s[0:1]
	v_cndmask_b32_e64 v54, 0, 1, s[4:5]
	;; [unrolled: 1-line block ×14, first 2 shown]
	s_waitcnt lgkmcnt(0)
	s_barrier
	s_waitcnt lgkmcnt(0)
                                        ; implicit-def: $sgpr0_sgpr1
	s_and_saveexec_b64 s[4:5], s[2:3]
	s_xor_b64 s[4:5], exec, s[4:5]
	s_cbranch_execz .LBB19_57
; %bb.56:
	v_add_u32_e32 v48, -4, v17
	ds_read_b32 v48, v48
	s_or_b64 s[50:51], s[50:51], exec
	s_waitcnt lgkmcnt(0)
	v_cmp_ne_u32_e32 vcc, v48, v46
	s_and_b64 s[0:1], vcc, exec
.LBB19_57:
	s_or_b64 exec, exec, s[4:5]
	s_mov_b32 s6, 1
	s_branch .LBB19_62
.LBB19_58:
                                        ; implicit-def: $sgpr0_sgpr1
                                        ; implicit-def: $vgpr53
                                        ; implicit-def: $vgpr54
                                        ; implicit-def: $vgpr55
                                        ; implicit-def: $vgpr56
                                        ; implicit-def: $vgpr57
                                        ; implicit-def: $vgpr58
                                        ; implicit-def: $vgpr59
                                        ; implicit-def: $vgpr66
                                        ; implicit-def: $vgpr65
                                        ; implicit-def: $vgpr64
                                        ; implicit-def: $vgpr63
                                        ; implicit-def: $vgpr62
                                        ; implicit-def: $vgpr61
                                        ; implicit-def: $vgpr60
                                        ; implicit-def: $sgpr6
	s_cbranch_execz .LBB19_62
; %bb.59:
	v_cmp_gt_u32_e32 vcc, s52, v3
	v_cmp_ne_u32_e64 s[0:1], v35, v1
	s_and_b64 s[0:1], vcc, s[0:1]
	v_cmp_gt_u32_e32 vcc, s52, v4
	v_cndmask_b32_e64 v53, 0, 1, s[0:1]
	v_cmp_ne_u32_e64 s[0:1], v34, v35
	s_and_b64 s[0:1], vcc, s[0:1]
	v_cmp_gt_u32_e32 vcc, s52, v5
	v_cndmask_b32_e64 v54, 0, 1, s[0:1]
	;; [unrolled: 4-line block ×13, first 2 shown]
	v_cmp_ne_u32_e64 s[0:1], v46, v47
	s_and_b64 s[0:1], vcc, s[0:1]
	s_waitcnt lgkmcnt(0)
	v_cndmask_b32_e64 v66, 0, 1, s[0:1]
	s_barrier
	s_waitcnt lgkmcnt(0)
                                        ; implicit-def: $sgpr0_sgpr1
	s_and_saveexec_b64 s[4:5], s[2:3]
	s_cbranch_execz .LBB19_61
; %bb.60:
	v_add_u32_e32 v17, -4, v17
	ds_read_b32 v17, v17
	v_cmp_gt_u32_e32 vcc, s52, v2
	s_or_b64 s[50:51], s[50:51], exec
	s_waitcnt lgkmcnt(0)
	v_cmp_ne_u32_e64 s[0:1], v17, v46
	s_and_b64 s[0:1], vcc, s[0:1]
	s_and_b64 s[0:1], s[0:1], exec
.LBB19_61:
	s_or_b64 exec, exec, s[4:5]
	s_mov_b32 s6, 1
.LBB19_62:
	v_mov_b32_e32 v49, s6
	s_and_saveexec_b64 s[2:3], s[50:51]
; %bb.63:
	v_cndmask_b32_e64 v49, 0, 1, s[0:1]
; %bb.64:
	s_or_b64 exec, exec, s[2:3]
	s_andn2_b64 vcc, exec, s[46:47]
	s_cbranch_vccnz .LBB19_66
; %bb.65:
	v_cmp_gt_u32_e32 vcc, s52, v2
	s_nop 1
	v_cndmask_b32_e32 v49, 0, v49, vcc
	v_cmp_gt_u32_e32 vcc, s52, v16
	s_nop 1
	v_cndmask_b32_e32 v66, 0, v66, vcc
	;; [unrolled: 3-line block ×15, first 2 shown]
.LBB19_66:
	v_and_b32_e32 v70, 0xff, v62
	v_and_b32_e32 v71, 0xff, v61
	;; [unrolled: 1-line block ×5, first 2 shown]
	v_add3_u32 v3, v71, v72, v70
	v_and_b32_e32 v51, 0xff, v66
	v_and_b32_e32 v67, 0xff, v65
	v_add3_u32 v3, v3, v69, v68
	v_and_b32_e32 v50, 0xff, v49
	v_and_b32_e32 v73, 0xff, v59
	;; [unrolled: 3-line block ×5, first 2 shown]
	v_add3_u32 v3, v3, v76, v77
	v_add3_u32 v81, v3, v78, v2
	v_mbcnt_lo_u32_b32 v2, -1, 0
	v_mbcnt_hi_u32_b32 v79, -1, v2
	v_and_b32_e32 v2, 15, v79
	v_cmp_eq_u32_e64 s[14:15], 0, v2
	v_cmp_lt_u32_e64 s[12:13], 1, v2
	v_cmp_lt_u32_e64 s[10:11], 3, v2
	;; [unrolled: 1-line block ×3, first 2 shown]
	v_and_b32_e32 v2, 16, v79
	v_cmp_eq_u32_e64 s[6:7], 0, v2
	v_or_b32_e32 v2, 63, v0
	v_cmp_lt_u32_e64 s[2:3], 31, v79
	v_lshrrev_b32_e32 v80, 6, v0
	v_cmp_eq_u32_e64 s[4:5], v2, v0
	s_and_b64 vcc, exec, s[48:49]
	s_waitcnt lgkmcnt(0)
	s_barrier
	s_cbranch_vccz .LBB19_97
; %bb.67:
	v_mov_b32_dpp v2, v81 row_shr:1 row_mask:0xf bank_mask:0xf
	v_cndmask_b32_e64 v2, v2, 0, s[14:15]
	v_add_u32_e32 v2, v2, v81
	s_nop 1
	v_mov_b32_dpp v3, v2 row_shr:2 row_mask:0xf bank_mask:0xf
	v_cndmask_b32_e64 v3, 0, v3, s[12:13]
	v_add_u32_e32 v2, v2, v3
	s_nop 1
	;; [unrolled: 4-line block ×4, first 2 shown]
	v_mov_b32_dpp v3, v2 row_bcast:15 row_mask:0xf bank_mask:0xf
	v_cndmask_b32_e64 v3, v3, 0, s[6:7]
	v_add_u32_e32 v2, v2, v3
	s_nop 1
	v_mov_b32_dpp v3, v2 row_bcast:31 row_mask:0xf bank_mask:0xf
	v_cndmask_b32_e64 v3, 0, v3, s[2:3]
	v_add_u32_e32 v2, v2, v3
	s_and_saveexec_b64 s[0:1], s[4:5]
	s_cbranch_execz .LBB19_69
; %bb.68:
	v_lshlrev_b32_e32 v3, 2, v80
	ds_write_b32 v3, v2
.LBB19_69:
	s_or_b64 exec, exec, s[0:1]
	v_cmp_gt_u32_e32 vcc, 8, v0
	s_waitcnt lgkmcnt(0)
	s_barrier
	s_and_saveexec_b64 s[0:1], vcc
	s_cbranch_execz .LBB19_71
; %bb.70:
	v_lshlrev_b32_e32 v3, 2, v0
	ds_read_b32 v4, v3
	v_and_b32_e32 v5, 7, v79
	v_cmp_ne_u32_e32 vcc, 0, v5
	s_waitcnt lgkmcnt(0)
	v_mov_b32_dpp v6, v4 row_shr:1 row_mask:0xf bank_mask:0xf
	v_cndmask_b32_e32 v6, 0, v6, vcc
	v_add_u32_e32 v4, v6, v4
	v_cmp_lt_u32_e32 vcc, 1, v5
	s_nop 0
	v_mov_b32_dpp v6, v4 row_shr:2 row_mask:0xf bank_mask:0xf
	v_cndmask_b32_e32 v6, 0, v6, vcc
	v_add_u32_e32 v4, v4, v6
	v_cmp_lt_u32_e32 vcc, 3, v5
	s_nop 0
	v_mov_b32_dpp v6, v4 row_shr:4 row_mask:0xf bank_mask:0xf
	v_cndmask_b32_e32 v5, 0, v6, vcc
	v_add_u32_e32 v4, v4, v5
	ds_write_b32 v3, v4
.LBB19_71:
	s_or_b64 exec, exec, s[0:1]
	v_cmp_gt_u32_e32 vcc, 64, v0
	v_cmp_lt_u32_e64 s[0:1], 63, v0
	s_waitcnt lgkmcnt(0)
	s_barrier
	s_waitcnt lgkmcnt(0)
                                        ; implicit-def: $vgpr12
	s_and_saveexec_b64 s[16:17], s[0:1]
	s_cbranch_execz .LBB19_73
; %bb.72:
	v_lshl_add_u32 v3, v80, 2, -4
	ds_read_b32 v12, v3
	s_waitcnt lgkmcnt(0)
	v_add_u32_e32 v2, v12, v2
.LBB19_73:
	s_or_b64 exec, exec, s[16:17]
	v_add_u32_e32 v3, -1, v79
	v_and_b32_e32 v4, 64, v79
	v_cmp_lt_i32_e64 s[0:1], v3, v4
	v_cmp_eq_u32_e64 s[16:17], 0, v79
	s_nop 0
	v_cndmask_b32_e64 v3, v3, v79, s[0:1]
	v_lshlrev_b32_e32 v3, 2, v3
	ds_bpermute_b32 v13, v3, v2
	s_and_saveexec_b64 s[0:1], vcc
	s_cbranch_execz .LBB19_96
; %bb.74:
	v_mov_b32_e32 v11, 0
	ds_read_b32 v2, v11 offset:28
	s_and_saveexec_b64 s[20:21], s[16:17]
	s_cbranch_execz .LBB19_76
; %bb.75:
	s_add_i32 s22, s33, 64
	s_mov_b32 s23, 0
	s_lshl_b64 s[22:23], s[22:23], 3
	s_add_u32 s22, s44, s22
	v_mov_b32_e32 v3, 1
	s_addc_u32 s23, s45, s23
	s_waitcnt lgkmcnt(0)
	global_store_dwordx2 v11, v[2:3], s[22:23] sc1
.LBB19_76:
	s_or_b64 exec, exec, s[20:21]
	v_xad_u32 v4, v79, -1, s33
	v_add_u32_e32 v10, 64, v4
	v_lshl_add_u64 v[6:7], v[10:11], 3, s[44:45]
	global_load_dwordx2 v[8:9], v[6:7], off sc1
	s_waitcnt vmcnt(0)
	v_cmp_eq_u16_sdwa s[22:23], v9, v11 src0_sel:BYTE_0 src1_sel:DWORD
	s_and_saveexec_b64 s[20:21], s[22:23]
	s_cbranch_execz .LBB19_82
; %bb.77:
	s_mov_b32 s24, 1
	s_mov_b64 s[22:23], 0
	v_mov_b32_e32 v3, 0
.LBB19_78:                              ; =>This Loop Header: Depth=1
                                        ;     Child Loop BB19_79 Depth 2
	s_max_u32 s25, s24, 1
.LBB19_79:                              ;   Parent Loop BB19_78 Depth=1
                                        ; =>  This Inner Loop Header: Depth=2
	s_add_i32 s25, s25, -1
	s_cmp_eq_u32 s25, 0
	s_sleep 1
	s_cbranch_scc0 .LBB19_79
; %bb.80:                               ;   in Loop: Header=BB19_78 Depth=1
	global_load_dwordx2 v[8:9], v[6:7], off sc1
	s_cmp_lt_u32 s24, 32
	s_cselect_b64 s[26:27], -1, 0
	s_cmp_lg_u64 s[26:27], 0
	s_addc_u32 s24, s24, 0
	s_waitcnt vmcnt(0)
	v_cmp_ne_u16_sdwa s[26:27], v9, v3 src0_sel:BYTE_0 src1_sel:DWORD
	s_or_b64 s[22:23], s[26:27], s[22:23]
	s_andn2_b64 exec, exec, s[22:23]
	s_cbranch_execnz .LBB19_78
; %bb.81:
	s_or_b64 exec, exec, s[22:23]
.LBB19_82:
	s_or_b64 exec, exec, s[20:21]
	v_and_b32_e32 v15, 63, v79
	v_mov_b32_e32 v14, 2
	v_cmp_ne_u32_e32 vcc, 63, v15
	v_cmp_eq_u16_sdwa s[20:21], v9, v14 src0_sel:BYTE_0 src1_sel:DWORD
	v_lshlrev_b64 v[6:7], v79, -1
	v_addc_co_u32_e32 v10, vcc, 0, v79, vcc
	v_and_b32_e32 v3, s21, v7
	v_lshlrev_b32_e32 v16, 2, v10
	v_or_b32_e32 v3, 0x80000000, v3
	ds_bpermute_b32 v10, v16, v8
	v_and_b32_e32 v5, s20, v6
	v_ffbl_b32_e32 v3, v3
	v_add_u32_e32 v3, 32, v3
	v_ffbl_b32_e32 v5, v5
	v_min_u32_e32 v3, v5, v3
	v_cmp_lt_u32_e32 vcc, v15, v3
	v_add_u32_e32 v48, 2, v15
	v_add_u32_e32 v83, 4, v15
	s_waitcnt lgkmcnt(0)
	v_cndmask_b32_e32 v5, 0, v10, vcc
	v_cmp_gt_u32_e32 vcc, 62, v15
	v_add_u32_e32 v5, v5, v8
	v_add_u32_e32 v85, 8, v15
	v_cndmask_b32_e64 v8, 0, 1, vcc
	v_lshlrev_b32_e32 v8, 1, v8
	v_add_lshl_u32 v17, v8, v79, 2
	ds_bpermute_b32 v8, v17, v5
	v_cmp_le_u32_e32 vcc, v48, v3
	v_add_u32_e32 v87, 16, v15
	v_add_u32_e32 v89, 32, v15
	s_waitcnt lgkmcnt(0)
	v_cndmask_b32_e32 v8, 0, v8, vcc
	v_cmp_gt_u32_e32 vcc, 60, v15
	v_add_u32_e32 v5, v5, v8
	s_nop 0
	v_cndmask_b32_e64 v8, 0, 1, vcc
	v_lshlrev_b32_e32 v8, 2, v8
	v_add_lshl_u32 v82, v8, v79, 2
	ds_bpermute_b32 v8, v82, v5
	v_cmp_le_u32_e32 vcc, v83, v3
	s_waitcnt lgkmcnt(0)
	s_nop 0
	v_cndmask_b32_e32 v8, 0, v8, vcc
	v_cmp_gt_u32_e32 vcc, 56, v15
	v_add_u32_e32 v5, v5, v8
	s_nop 0
	v_cndmask_b32_e64 v8, 0, 1, vcc
	v_lshlrev_b32_e32 v8, 3, v8
	v_add_lshl_u32 v84, v8, v79, 2
	ds_bpermute_b32 v8, v84, v5
	v_cmp_le_u32_e32 vcc, v85, v3
	s_waitcnt lgkmcnt(0)
	s_nop 0
	;; [unrolled: 11-line block ×4, first 2 shown]
	v_cndmask_b32_e32 v3, 0, v8, vcc
	v_add_u32_e32 v8, v5, v3
	v_mov_b32_e32 v5, 0
	s_branch .LBB19_84
.LBB19_83:                              ;   in Loop: Header=BB19_84 Depth=1
	s_or_b64 exec, exec, s[20:21]
	v_cmp_eq_u16_sdwa s[20:21], v9, v14 src0_sel:BYTE_0 src1_sel:DWORD
	ds_bpermute_b32 v90, v16, v8
	v_subrev_u32_e32 v4, 64, v4
	v_and_b32_e32 v10, s21, v7
	v_or_b32_e32 v10, 0x80000000, v10
	v_and_b32_e32 v11, s20, v6
	v_ffbl_b32_e32 v10, v10
	v_add_u32_e32 v10, 32, v10
	v_ffbl_b32_e32 v11, v11
	v_min_u32_e32 v10, v11, v10
	v_cmp_lt_u32_e32 vcc, v15, v10
	s_waitcnt lgkmcnt(0)
	s_nop 0
	v_cndmask_b32_e32 v11, 0, v90, vcc
	v_add_u32_e32 v8, v11, v8
	ds_bpermute_b32 v11, v17, v8
	v_cmp_le_u32_e32 vcc, v48, v10
	s_waitcnt lgkmcnt(0)
	s_nop 0
	v_cndmask_b32_e32 v11, 0, v11, vcc
	v_add_u32_e32 v8, v8, v11
	ds_bpermute_b32 v11, v82, v8
	v_cmp_le_u32_e32 vcc, v83, v10
	;; [unrolled: 6-line block ×5, first 2 shown]
	s_waitcnt lgkmcnt(0)
	s_nop 0
	v_cndmask_b32_e32 v10, 0, v11, vcc
	v_add3_u32 v8, v10, v3, v8
.LBB19_84:                              ; =>This Loop Header: Depth=1
                                        ;     Child Loop BB19_87 Depth 2
                                        ;       Child Loop BB19_88 Depth 3
	v_cmp_ne_u16_sdwa s[20:21], v9, v14 src0_sel:BYTE_0 src1_sel:DWORD
	s_nop 1
	v_cndmask_b32_e64 v3, 0, 1, s[20:21]
	;;#ASMSTART
	;;#ASMEND
	s_nop 0
	v_cmp_ne_u32_e32 vcc, 0, v3
	s_cmp_lg_u64 vcc, exec
	v_mov_b32_e32 v3, v8
	s_cbranch_scc1 .LBB19_91
; %bb.85:                               ;   in Loop: Header=BB19_84 Depth=1
	v_lshl_add_u64 v[10:11], v[4:5], 3, s[44:45]
	global_load_dwordx2 v[8:9], v[10:11], off sc1
	s_waitcnt vmcnt(0)
	v_cmp_eq_u16_sdwa s[22:23], v9, v5 src0_sel:BYTE_0 src1_sel:DWORD
	s_and_saveexec_b64 s[20:21], s[22:23]
	s_cbranch_execz .LBB19_83
; %bb.86:                               ;   in Loop: Header=BB19_84 Depth=1
	s_mov_b32 s24, 1
	s_mov_b64 s[22:23], 0
.LBB19_87:                              ;   Parent Loop BB19_84 Depth=1
                                        ; =>  This Loop Header: Depth=2
                                        ;       Child Loop BB19_88 Depth 3
	s_max_u32 s25, s24, 1
.LBB19_88:                              ;   Parent Loop BB19_84 Depth=1
                                        ;     Parent Loop BB19_87 Depth=2
                                        ; =>    This Inner Loop Header: Depth=3
	s_add_i32 s25, s25, -1
	s_cmp_eq_u32 s25, 0
	s_sleep 1
	s_cbranch_scc0 .LBB19_88
; %bb.89:                               ;   in Loop: Header=BB19_87 Depth=2
	global_load_dwordx2 v[8:9], v[10:11], off sc1
	s_cmp_lt_u32 s24, 32
	s_cselect_b64 s[26:27], -1, 0
	s_cmp_lg_u64 s[26:27], 0
	s_addc_u32 s24, s24, 0
	s_waitcnt vmcnt(0)
	v_cmp_ne_u16_sdwa s[26:27], v9, v5 src0_sel:BYTE_0 src1_sel:DWORD
	s_or_b64 s[22:23], s[26:27], s[22:23]
	s_andn2_b64 exec, exec, s[22:23]
	s_cbranch_execnz .LBB19_87
; %bb.90:                               ;   in Loop: Header=BB19_84 Depth=1
	s_or_b64 exec, exec, s[22:23]
	s_branch .LBB19_83
.LBB19_91:                              ;   in Loop: Header=BB19_84 Depth=1
                                        ; implicit-def: $vgpr8
                                        ; implicit-def: $vgpr9
	s_cbranch_execz .LBB19_84
; %bb.92:
	s_and_saveexec_b64 s[20:21], s[16:17]
	s_cbranch_execz .LBB19_94
; %bb.93:
	s_add_i32 s22, s33, 64
	s_mov_b32 s23, 0
	s_lshl_b64 s[22:23], s[22:23], 3
	s_add_u32 s22, s44, s22
	v_add_u32_e32 v4, v3, v2
	v_mov_b32_e32 v5, 2
	s_addc_u32 s23, s45, s23
	v_mov_b32_e32 v6, 0
	global_store_dwordx2 v6, v[4:5], s[22:23] sc1
	ds_write_b64 v6, v[2:3] offset:30720
.LBB19_94:
	s_or_b64 exec, exec, s[20:21]
	s_and_b64 exec, exec, s[18:19]
	s_cbranch_execz .LBB19_96
; %bb.95:
	v_mov_b32_e32 v2, 0
	ds_write_b32 v2, v3 offset:28
.LBB19_96:
	s_or_b64 exec, exec, s[0:1]
	v_mov_b32_e32 v14, 0
	s_waitcnt lgkmcnt(0)
	s_barrier
	ds_read_b32 v2, v14 offset:28
	v_cndmask_b32_e64 v3, v13, v12, s[16:17]
	v_cndmask_b32_e64 v3, v3, 0, s[18:19]
	s_waitcnt lgkmcnt(0)
	s_barrier
	v_add_u32_e32 v2, v2, v3
	v_add_u32_e32 v3, v2, v50
	;; [unrolled: 1-line block ×10, first 2 shown]
	ds_read_b64 v[82:83], v14 offset:30720
	v_add_u32_e32 v12, v11, v74
	v_add_u32_e32 v13, v12, v75
	;; [unrolled: 1-line block ×5, first 2 shown]
	s_waitcnt lgkmcnt(0)
	v_readfirstlane_b32 s16, v82
	v_mov_b32_e32 v48, v83
	s_branch .LBB19_107
.LBB19_97:
                                        ; implicit-def: $vgpr48
                                        ; implicit-def: $sgpr16
                                        ; implicit-def: $vgpr2_vgpr3_vgpr4_vgpr5_vgpr6_vgpr7_vgpr8_vgpr9_vgpr10_vgpr11_vgpr12_vgpr13_vgpr14_vgpr15_vgpr16_vgpr17
	s_cbranch_execz .LBB19_107
; %bb.98:
	s_nop 0
	v_mov_b32_dpp v2, v81 row_shr:1 row_mask:0xf bank_mask:0xf
	v_cndmask_b32_e64 v2, v2, 0, s[14:15]
	v_add_u32_e32 v2, v2, v81
	s_nop 1
	v_mov_b32_dpp v3, v2 row_shr:2 row_mask:0xf bank_mask:0xf
	v_cndmask_b32_e64 v3, 0, v3, s[12:13]
	v_add_u32_e32 v2, v2, v3
	;; [unrolled: 4-line block ×4, first 2 shown]
	s_nop 1
	v_mov_b32_dpp v3, v2 row_bcast:15 row_mask:0xf bank_mask:0xf
	v_cndmask_b32_e64 v3, v3, 0, s[6:7]
	v_add_u32_e32 v2, v2, v3
	s_nop 1
	v_mov_b32_dpp v3, v2 row_bcast:31 row_mask:0xf bank_mask:0xf
	v_cndmask_b32_e64 v3, 0, v3, s[2:3]
	v_add_u32_e32 v2, v2, v3
	s_and_saveexec_b64 s[0:1], s[4:5]
	s_cbranch_execz .LBB19_100
; %bb.99:
	v_lshlrev_b32_e32 v3, 2, v80
	ds_write_b32 v3, v2
.LBB19_100:
	s_or_b64 exec, exec, s[0:1]
	v_cmp_gt_u32_e32 vcc, 8, v0
	s_waitcnt lgkmcnt(0)
	s_barrier
	s_and_saveexec_b64 s[0:1], vcc
	s_cbranch_execz .LBB19_102
; %bb.101:
	v_lshlrev_b32_e32 v3, 2, v0
	ds_read_b32 v4, v3
	v_and_b32_e32 v5, 7, v79
	v_cmp_ne_u32_e32 vcc, 0, v5
	s_waitcnt lgkmcnt(0)
	v_mov_b32_dpp v6, v4 row_shr:1 row_mask:0xf bank_mask:0xf
	v_cndmask_b32_e32 v6, 0, v6, vcc
	v_add_u32_e32 v4, v6, v4
	v_cmp_lt_u32_e32 vcc, 1, v5
	s_nop 0
	v_mov_b32_dpp v6, v4 row_shr:2 row_mask:0xf bank_mask:0xf
	v_cndmask_b32_e32 v6, 0, v6, vcc
	v_add_u32_e32 v4, v4, v6
	v_cmp_lt_u32_e32 vcc, 3, v5
	s_nop 0
	v_mov_b32_dpp v6, v4 row_shr:4 row_mask:0xf bank_mask:0xf
	v_cndmask_b32_e32 v5, 0, v6, vcc
	v_add_u32_e32 v4, v4, v5
	ds_write_b32 v3, v4
.LBB19_102:
	s_or_b64 exec, exec, s[0:1]
	v_cmp_lt_u32_e32 vcc, 63, v0
	v_mov_b32_e32 v4, 0
	v_mov_b32_e32 v3, 0
	s_waitcnt lgkmcnt(0)
	s_barrier
	s_and_saveexec_b64 s[0:1], vcc
	s_cbranch_execz .LBB19_104
; %bb.103:
	v_lshl_add_u32 v3, v80, 2, -4
	ds_read_b32 v3, v3
.LBB19_104:
	s_or_b64 exec, exec, s[0:1]
	v_add_u32_e32 v5, -1, v79
	v_and_b32_e32 v6, 64, v79
	v_cmp_lt_i32_e32 vcc, v5, v6
	s_waitcnt lgkmcnt(0)
	v_add_u32_e32 v2, v3, v2
	ds_read_b32 v4, v4 offset:28
	v_cndmask_b32_e32 v5, v5, v79, vcc
	v_lshlrev_b32_e32 v5, 2, v5
	ds_bpermute_b32 v2, v5, v2
	s_waitcnt lgkmcnt(1)
	v_readfirstlane_b32 s16, v4
	s_and_saveexec_b64 s[0:1], s[18:19]
	s_cbranch_execz .LBB19_106
; %bb.105:
	v_mov_b32_e32 v6, 0
	v_mov_b32_e32 v4, s16
	;; [unrolled: 1-line block ×3, first 2 shown]
	global_store_dwordx2 v6, v[4:5], s[44:45] offset:512 sc1
.LBB19_106:
	s_or_b64 exec, exec, s[0:1]
	v_cmp_eq_u32_e32 vcc, 0, v79
	v_mov_b32_e32 v48, 0
	s_waitcnt lgkmcnt(0)
	v_cndmask_b32_e32 v2, v2, v3, vcc
	v_cndmask_b32_e64 v2, v2, 0, s[18:19]
	v_add_u32_e32 v3, v2, v50
	v_add_u32_e32 v4, v3, v51
	;; [unrolled: 1-line block ×14, first 2 shown]
	s_barrier
.LBB19_107:
	s_cmpk_lt_u32 s16, 0x201
	s_cselect_b64 s[2:3], -1, 0
	v_add_u32_e32 v67, s16, v48
	s_mov_b64 s[4:5], -1
	s_and_b64 vcc, exec, s[2:3]
	v_cmp_lt_u32_e64 s[0:1], v2, v67
	s_cbranch_vccz .LBB19_154
; %bb.108:
	s_waitcnt vmcnt(0)
	v_lshlrev_b64 v[50:51], 2, v[18:19]
	v_lshl_add_u64 v[50:51], s[40:41], 0, v[50:51]
	s_or_b64 s[4:5], s[38:39], s[0:1]
	s_and_saveexec_b64 s[0:1], s[4:5]
	s_cbranch_execz .LBB19_111
; %bb.109:
	v_and_b32_e32 v17, 1, v49
	v_cmp_eq_u32_e32 vcc, 1, v17
	s_and_b64 exec, exec, vcc
	s_cbranch_execz .LBB19_111
; %bb.110:
	v_mov_b32_e32 v69, 0
	v_mov_b32_e32 v68, v2
	v_lshl_add_u64 v[68:69], v[68:69], 2, v[50:51]
	global_store_dword v[68:69], v46, off
.LBB19_111:
	s_or_b64 exec, exec, s[0:1]
	v_cmp_lt_u32_e32 vcc, v3, v67
	s_or_b64 s[4:5], s[38:39], vcc
	s_and_saveexec_b64 s[0:1], s[4:5]
	s_cbranch_execz .LBB19_114
; %bb.112:
	v_and_b32_e32 v17, 1, v66
	v_cmp_eq_u32_e32 vcc, 1, v17
	s_and_b64 exec, exec, vcc
	s_cbranch_execz .LBB19_114
; %bb.113:
	v_mov_b32_e32 v69, 0
	v_mov_b32_e32 v68, v3
	v_lshl_add_u64 v[68:69], v[68:69], 2, v[50:51]
	global_store_dword v[68:69], v47, off
.LBB19_114:
	s_or_b64 exec, exec, s[0:1]
	v_cmp_lt_u32_e32 vcc, v4, v67
	s_or_b64 s[4:5], s[38:39], vcc
	s_and_saveexec_b64 s[0:1], s[4:5]
	s_cbranch_execz .LBB19_117
; %bb.115:
	v_and_b32_e32 v17, 1, v65
	v_cmp_eq_u32_e32 vcc, 1, v17
	s_and_b64 exec, exec, vcc
	s_cbranch_execz .LBB19_117
; %bb.116:
	v_mov_b32_e32 v69, 0
	v_mov_b32_e32 v68, v4
	v_lshl_add_u64 v[68:69], v[68:69], 2, v[50:51]
	global_store_dword v[68:69], v44, off
.LBB19_117:
	s_or_b64 exec, exec, s[0:1]
	v_cmp_lt_u32_e32 vcc, v5, v67
	s_or_b64 s[4:5], s[38:39], vcc
	s_and_saveexec_b64 s[0:1], s[4:5]
	s_cbranch_execz .LBB19_120
; %bb.118:
	v_and_b32_e32 v17, 1, v64
	v_cmp_eq_u32_e32 vcc, 1, v17
	s_and_b64 exec, exec, vcc
	s_cbranch_execz .LBB19_120
; %bb.119:
	v_mov_b32_e32 v69, 0
	v_mov_b32_e32 v68, v5
	v_lshl_add_u64 v[68:69], v[68:69], 2, v[50:51]
	global_store_dword v[68:69], v45, off
.LBB19_120:
	s_or_b64 exec, exec, s[0:1]
	v_cmp_lt_u32_e32 vcc, v6, v67
	s_or_b64 s[4:5], s[38:39], vcc
	s_and_saveexec_b64 s[0:1], s[4:5]
	s_cbranch_execz .LBB19_123
; %bb.121:
	v_and_b32_e32 v17, 1, v63
	v_cmp_eq_u32_e32 vcc, 1, v17
	s_and_b64 exec, exec, vcc
	s_cbranch_execz .LBB19_123
; %bb.122:
	v_mov_b32_e32 v69, 0
	v_mov_b32_e32 v68, v6
	v_lshl_add_u64 v[68:69], v[68:69], 2, v[50:51]
	global_store_dword v[68:69], v42, off
.LBB19_123:
	s_or_b64 exec, exec, s[0:1]
	v_cmp_lt_u32_e32 vcc, v7, v67
	s_or_b64 s[4:5], s[38:39], vcc
	s_and_saveexec_b64 s[0:1], s[4:5]
	s_cbranch_execz .LBB19_126
; %bb.124:
	v_and_b32_e32 v17, 1, v62
	v_cmp_eq_u32_e32 vcc, 1, v17
	s_and_b64 exec, exec, vcc
	s_cbranch_execz .LBB19_126
; %bb.125:
	v_mov_b32_e32 v69, 0
	v_mov_b32_e32 v68, v7
	v_lshl_add_u64 v[68:69], v[68:69], 2, v[50:51]
	global_store_dword v[68:69], v43, off
.LBB19_126:
	s_or_b64 exec, exec, s[0:1]
	v_cmp_lt_u32_e32 vcc, v8, v67
	s_or_b64 s[4:5], s[38:39], vcc
	s_and_saveexec_b64 s[0:1], s[4:5]
	s_cbranch_execz .LBB19_129
; %bb.127:
	v_and_b32_e32 v17, 1, v61
	v_cmp_eq_u32_e32 vcc, 1, v17
	s_and_b64 exec, exec, vcc
	s_cbranch_execz .LBB19_129
; %bb.128:
	v_mov_b32_e32 v69, 0
	v_mov_b32_e32 v68, v8
	v_lshl_add_u64 v[68:69], v[68:69], 2, v[50:51]
	global_store_dword v[68:69], v40, off
.LBB19_129:
	s_or_b64 exec, exec, s[0:1]
	v_cmp_lt_u32_e32 vcc, v9, v67
	s_or_b64 s[4:5], s[38:39], vcc
	s_and_saveexec_b64 s[0:1], s[4:5]
	s_cbranch_execz .LBB19_132
; %bb.130:
	v_and_b32_e32 v17, 1, v60
	v_cmp_eq_u32_e32 vcc, 1, v17
	s_and_b64 exec, exec, vcc
	s_cbranch_execz .LBB19_132
; %bb.131:
	v_mov_b32_e32 v69, 0
	v_mov_b32_e32 v68, v9
	v_lshl_add_u64 v[68:69], v[68:69], 2, v[50:51]
	global_store_dword v[68:69], v41, off
.LBB19_132:
	s_or_b64 exec, exec, s[0:1]
	v_cmp_lt_u32_e32 vcc, v10, v67
	s_or_b64 s[4:5], s[38:39], vcc
	s_and_saveexec_b64 s[0:1], s[4:5]
	s_cbranch_execz .LBB19_135
; %bb.133:
	v_and_b32_e32 v17, 1, v59
	v_cmp_eq_u32_e32 vcc, 1, v17
	s_and_b64 exec, exec, vcc
	s_cbranch_execz .LBB19_135
; %bb.134:
	v_mov_b32_e32 v69, 0
	v_mov_b32_e32 v68, v10
	v_lshl_add_u64 v[68:69], v[68:69], 2, v[50:51]
	global_store_dword v[68:69], v38, off
.LBB19_135:
	s_or_b64 exec, exec, s[0:1]
	v_cmp_lt_u32_e32 vcc, v11, v67
	s_or_b64 s[4:5], s[38:39], vcc
	s_and_saveexec_b64 s[0:1], s[4:5]
	s_cbranch_execz .LBB19_138
; %bb.136:
	v_and_b32_e32 v17, 1, v58
	v_cmp_eq_u32_e32 vcc, 1, v17
	s_and_b64 exec, exec, vcc
	s_cbranch_execz .LBB19_138
; %bb.137:
	v_mov_b32_e32 v69, 0
	v_mov_b32_e32 v68, v11
	v_lshl_add_u64 v[68:69], v[68:69], 2, v[50:51]
	global_store_dword v[68:69], v39, off
.LBB19_138:
	s_or_b64 exec, exec, s[0:1]
	v_cmp_lt_u32_e32 vcc, v12, v67
	s_or_b64 s[4:5], s[38:39], vcc
	s_and_saveexec_b64 s[0:1], s[4:5]
	s_cbranch_execz .LBB19_141
; %bb.139:
	v_and_b32_e32 v17, 1, v57
	v_cmp_eq_u32_e32 vcc, 1, v17
	s_and_b64 exec, exec, vcc
	s_cbranch_execz .LBB19_141
; %bb.140:
	v_mov_b32_e32 v69, 0
	v_mov_b32_e32 v68, v12
	v_lshl_add_u64 v[68:69], v[68:69], 2, v[50:51]
	global_store_dword v[68:69], v36, off
.LBB19_141:
	s_or_b64 exec, exec, s[0:1]
	v_cmp_lt_u32_e32 vcc, v13, v67
	s_or_b64 s[4:5], s[38:39], vcc
	s_and_saveexec_b64 s[0:1], s[4:5]
	s_cbranch_execz .LBB19_144
; %bb.142:
	v_and_b32_e32 v17, 1, v56
	v_cmp_eq_u32_e32 vcc, 1, v17
	s_and_b64 exec, exec, vcc
	s_cbranch_execz .LBB19_144
; %bb.143:
	v_mov_b32_e32 v69, 0
	v_mov_b32_e32 v68, v13
	v_lshl_add_u64 v[68:69], v[68:69], 2, v[50:51]
	global_store_dword v[68:69], v37, off
.LBB19_144:
	s_or_b64 exec, exec, s[0:1]
	v_cmp_lt_u32_e32 vcc, v14, v67
	s_or_b64 s[4:5], s[38:39], vcc
	s_and_saveexec_b64 s[0:1], s[4:5]
	s_cbranch_execz .LBB19_147
; %bb.145:
	v_and_b32_e32 v17, 1, v55
	v_cmp_eq_u32_e32 vcc, 1, v17
	s_and_b64 exec, exec, vcc
	s_cbranch_execz .LBB19_147
; %bb.146:
	v_mov_b32_e32 v69, 0
	v_mov_b32_e32 v68, v14
	v_lshl_add_u64 v[68:69], v[68:69], 2, v[50:51]
	global_store_dword v[68:69], v34, off
.LBB19_147:
	s_or_b64 exec, exec, s[0:1]
	v_cmp_lt_u32_e32 vcc, v15, v67
	s_or_b64 s[4:5], s[38:39], vcc
	s_and_saveexec_b64 s[0:1], s[4:5]
	s_cbranch_execz .LBB19_150
; %bb.148:
	v_and_b32_e32 v17, 1, v54
	v_cmp_eq_u32_e32 vcc, 1, v17
	s_and_b64 exec, exec, vcc
	s_cbranch_execz .LBB19_150
; %bb.149:
	v_mov_b32_e32 v69, 0
	v_mov_b32_e32 v68, v15
	v_lshl_add_u64 v[68:69], v[68:69], 2, v[50:51]
	global_store_dword v[68:69], v35, off
.LBB19_150:
	s_or_b64 exec, exec, s[0:1]
	v_cmp_lt_u32_e32 vcc, v16, v67
	s_or_b64 s[4:5], s[38:39], vcc
	s_and_saveexec_b64 s[0:1], s[4:5]
	s_cbranch_execz .LBB19_153
; %bb.151:
	v_and_b32_e32 v17, 1, v53
	v_cmp_eq_u32_e32 vcc, 1, v17
	s_and_b64 exec, exec, vcc
	s_cbranch_execz .LBB19_153
; %bb.152:
	v_mov_b32_e32 v17, 0
	v_lshl_add_u64 v[50:51], v[16:17], 2, v[50:51]
	global_store_dword v[50:51], v1, off
.LBB19_153:
	s_or_b64 exec, exec, s[0:1]
	s_mov_b64 s[4:5], 0
.LBB19_154:
	v_and_b32_e32 v50, 1, v49
	s_and_b64 vcc, exec, s[4:5]
	v_cmp_eq_u32_e64 s[0:1], 1, v50
	s_cbranch_vccz .LBB19_199
; %bb.155:
	s_and_saveexec_b64 s[4:5], s[0:1]
	s_cbranch_execz .LBB19_157
; %bb.156:
	s_waitcnt vmcnt(0)
	v_sub_u32_e32 v17, v2, v48
	v_lshlrev_b32_e32 v17, 2, v17
	ds_write_b32 v17, v46
.LBB19_157:
	s_or_b64 exec, exec, s[4:5]
	s_waitcnt vmcnt(0)
	v_and_b32_e32 v17, 1, v66
	v_cmp_eq_u32_e32 vcc, 1, v17
	s_and_saveexec_b64 s[0:1], vcc
	s_cbranch_execz .LBB19_159
; %bb.158:
	v_sub_u32_e32 v17, v3, v48
	v_lshlrev_b32_e32 v17, 2, v17
	ds_write_b32 v17, v47
.LBB19_159:
	s_or_b64 exec, exec, s[0:1]
	v_and_b32_e32 v17, 1, v65
	v_cmp_eq_u32_e32 vcc, 1, v17
	s_and_saveexec_b64 s[0:1], vcc
	s_cbranch_execz .LBB19_161
; %bb.160:
	v_sub_u32_e32 v17, v4, v48
	v_lshlrev_b32_e32 v17, 2, v17
	ds_write_b32 v17, v44
.LBB19_161:
	s_or_b64 exec, exec, s[0:1]
	;; [unrolled: 10-line block ×14, first 2 shown]
	v_cmp_gt_u32_e32 vcc, s16, v0
	s_waitcnt lgkmcnt(0)
	s_barrier
	s_and_saveexec_b64 s[0:1], vcc
	s_cbranch_execz .LBB19_198
; %bb.186:
	v_mov_b32_e32 v49, 0
	v_lshlrev_b64 v[34:35], 2, v[18:19]
	v_lshl_add_u64 v[34:35], s[40:41], 0, v[34:35]
	v_lshlrev_b64 v[36:37], 2, v[48:49]
	v_xad_u32 v1, v0, -1, s16
	s_movk_i32 s4, 0x1ff
	v_lshl_add_u64 v[34:35], v[34:35], 0, v[36:37]
	v_cmp_lt_u32_e32 vcc, s4, v1
	s_mov_b64 s[6:7], -1
	v_mov_b32_e32 v36, v0
	s_and_saveexec_b64 s[4:5], vcc
	s_cbranch_execz .LBB19_195
; %bb.187:
	v_lshrrev_b32_e32 v17, 9, v1
	v_add_u32_e32 v36, -1, v17
	v_or_b32_e32 v1, 0x200, v0
	v_lshrrev_b32_e32 v37, 1, v36
	v_add_u32_e32 v40, 1, v37
	v_cmp_lt_u32_e32 vcc, 13, v36
	v_mov_b64_e32 v[36:37], v[0:1]
	s_and_saveexec_b64 s[6:7], vcc
	s_cbranch_execz .LBB19_191
; %bb.188:
	v_and_b32_e32 v41, -8, v40
	v_lshlrev_b32_e32 v42, 2, v0
	s_mov_b32 s10, 0
	s_mov_b64 s[8:9], 0
	v_mov_b32_e32 v39, 0
	v_mov_b64_e32 v[36:37], v[0:1]
.LBB19_189:                             ; =>This Inner Loop Header: Depth=1
	ds_read2st64_b32 v[44:45], v42 offset1:8
	v_mov_b32_e32 v38, v36
	ds_read2st64_b32 v[76:77], v42 offset0:48 offset1:56
	v_lshl_add_u64 v[94:95], v[38:39], 2, v[34:35]
	v_mov_b32_e32 v38, v37
	ds_read2st64_b32 v[68:69], v42 offset0:16 offset1:24
	ds_read2st64_b32 v[80:81], v42 offset0:64 offset1:72
	v_lshl_add_u64 v[96:97], v[38:39], 2, v[34:35]
	v_add_u32_e32 v38, 0x400, v36
	ds_read2st64_b32 v[84:85], v42 offset0:80 offset1:88
	v_lshl_add_u64 v[98:99], v[38:39], 2, v[34:35]
	v_add_u32_e32 v38, 0x800, v36
	v_add_u32_e32 v46, 0x400, v37
	v_mov_b32_e32 v47, v39
	v_add_u32_e32 v70, 0x800, v37
	ds_read2st64_b32 v[72:73], v42 offset0:32 offset1:40
	v_mov_b32_e32 v71, v39
	ds_read2st64_b32 v[88:89], v42 offset0:96 offset1:104
	v_lshl_add_u64 v[100:101], v[38:39], 2, v[34:35]
	v_add_u32_e32 v38, 0xc00, v36
	v_add_u32_e32 v74, 0xc00, v37
	v_mov_b32_e32 v75, v39
	ds_read2st64_b32 v[92:93], v42 offset0:112 offset1:120
	v_lshl_add_u64 v[46:47], v[46:47], 2, v[34:35]
	v_lshl_add_u64 v[70:71], v[70:71], 2, v[34:35]
	s_waitcnt lgkmcnt(7)
	global_store_dword v[94:95], v44, off
	global_store_dword v[96:97], v45, off
	s_waitcnt lgkmcnt(5)
	global_store_dword v[98:99], v68, off
	global_store_dword v[46:47], v69, off
	;; [unrolled: 3-line block ×3, first 2 shown]
	v_lshl_add_u64 v[44:45], v[38:39], 2, v[34:35]
	v_add_u32_e32 v38, 0x1000, v36
	v_add_u32_e32 v78, 0x1000, v37
	v_mov_b32_e32 v79, v39
	v_lshl_add_u64 v[74:75], v[74:75], 2, v[34:35]
	global_store_dword v[44:45], v76, off
	global_store_dword v[74:75], v77, off
	v_lshl_add_u64 v[44:45], v[38:39], 2, v[34:35]
	v_add_u32_e32 v38, 0x1400, v36
	v_add_u32_e32 v82, 0x1400, v37
	v_mov_b32_e32 v83, v39
	v_add_u32_e32 v41, -8, v41
	v_lshl_add_u64 v[78:79], v[78:79], 2, v[34:35]
	global_store_dword v[44:45], v80, off
	global_store_dword v[78:79], v81, off
	v_lshl_add_u64 v[44:45], v[38:39], 2, v[34:35]
	v_add_u32_e32 v38, 0x1800, v36
	v_add_u32_e32 v86, 0x1800, v37
	v_mov_b32_e32 v87, v39
	s_add_i32 s10, s10, 16
	v_lshl_add_u64 v[82:83], v[82:83], 2, v[34:35]
	v_cmp_eq_u32_e32 vcc, 0, v41
	global_store_dword v[44:45], v84, off
	global_store_dword v[82:83], v85, off
	v_lshl_add_u64 v[44:45], v[38:39], 2, v[34:35]
	v_add_u32_e32 v38, 0x1c00, v36
	v_add_u32_e32 v90, 0x1c00, v37
	v_mov_b32_e32 v91, v39
	v_add_u32_e32 v42, 0x8000, v42
	v_lshl_add_u64 v[86:87], v[86:87], 2, v[34:35]
	v_add_u32_e32 v37, 0x2000, v37
	v_mov_b32_e32 v49, s10
	s_or_b64 s[8:9], vcc, s[8:9]
	v_add_u32_e32 v36, 0x2000, v36
	s_waitcnt lgkmcnt(1)
	global_store_dword v[44:45], v88, off
	global_store_dword v[86:87], v89, off
	v_lshl_add_u64 v[44:45], v[38:39], 2, v[34:35]
	v_lshl_add_u64 v[90:91], v[90:91], 2, v[34:35]
	s_waitcnt lgkmcnt(0)
	global_store_dword v[44:45], v92, off
	global_store_dword v[90:91], v93, off
	s_andn2_b64 exec, exec, s[8:9]
	s_cbranch_execnz .LBB19_189
; %bb.190:
	s_or_b64 exec, exec, s[8:9]
.LBB19_191:
	s_or_b64 exec, exec, s[6:7]
	v_and_b32_e32 v1, 7, v40
	v_cmp_ne_u32_e32 vcc, 0, v1
	s_and_saveexec_b64 s[6:7], vcc
	s_cbranch_execz .LBB19_194
; %bb.192:
	v_lshlrev_b32_e32 v38, 2, v0
	v_lshl_or_b32 v40, v49, 11, v38
	s_mov_b64 s[8:9], 0
	v_mov_b32_e32 v39, 0
.LBB19_193:                             ; =>This Inner Loop Header: Depth=1
	ds_read2st64_b32 v[42:43], v40 offset1:8
	v_add_u32_e32 v1, -1, v1
	v_mov_b32_e32 v38, v36
	v_cmp_eq_u32_e32 vcc, 0, v1
	v_add_u32_e32 v36, 0x400, v36
	v_add_u32_e32 v40, 0x1000, v40
	v_lshl_add_u64 v[44:45], v[38:39], 2, v[34:35]
	v_mov_b32_e32 v38, v37
	v_add_u32_e32 v37, 0x400, v37
	s_or_b64 s[8:9], vcc, s[8:9]
	v_lshl_add_u64 v[46:47], v[38:39], 2, v[34:35]
	s_waitcnt lgkmcnt(0)
	global_store_dword v[44:45], v42, off
	global_store_dword v[46:47], v43, off
	s_andn2_b64 exec, exec, s[8:9]
	s_cbranch_execnz .LBB19_193
.LBB19_194:
	s_or_b64 exec, exec, s[6:7]
	v_add_u32_e32 v1, 1, v17
	v_and_b32_e32 v17, 0xfffffe, v1
	v_cmp_ne_u32_e32 vcc, v1, v17
	v_lshl_or_b32 v36, v17, 9, v0
	s_orn2_b64 s[6:7], vcc, exec
.LBB19_195:
	s_or_b64 exec, exec, s[4:5]
	s_and_b64 exec, exec, s[6:7]
	s_cbranch_execz .LBB19_198
; %bb.196:
	v_lshlrev_b32_e32 v1, 2, v36
	s_mov_b64 s[4:5], 0
	v_mov_b32_e32 v37, 0
.LBB19_197:                             ; =>This Inner Loop Header: Depth=1
	ds_read_b32 v17, v1
	v_lshl_add_u64 v[38:39], v[36:37], 2, v[34:35]
	v_add_u32_e32 v36, 0x200, v36
	v_cmp_le_u32_e32 vcc, s16, v36
	v_add_u32_e32 v1, 0x800, v1
	s_or_b64 s[4:5], vcc, s[4:5]
	s_waitcnt lgkmcnt(0)
	global_store_dword v[38:39], v17, off
	s_andn2_b64 exec, exec, s[4:5]
	s_cbranch_execnz .LBB19_197
.LBB19_198:
	s_or_b64 exec, exec, s[0:1]
.LBB19_199:
	s_mov_b64 s[0:1], -1
	s_and_b64 vcc, exec, s[2:3]
	s_barrier
	s_cbranch_vccnz .LBB19_203
; %bb.200:
	s_and_b64 vcc, exec, s[0:1]
	s_cbranch_vccnz .LBB19_249
.LBB19_201:
	s_and_b64 s[0:1], s[18:19], s[34:35]
	s_and_saveexec_b64 s[2:3], s[0:1]
	s_cbranch_execnz .LBB19_293
.LBB19_202:
	s_endpgm
.LBB19_203:
	s_waitcnt vmcnt(0)
	v_lshlrev_b64 v[34:35], 2, v[18:19]
	v_cmp_lt_u32_e32 vcc, v2, v67
	v_lshl_add_u64 v[34:35], s[42:43], 0, v[34:35]
	s_or_b64 s[2:3], s[38:39], vcc
	s_and_saveexec_b64 s[0:1], s[2:3]
	s_cbranch_execz .LBB19_206
; %bb.204:
	v_cmp_eq_u32_e32 vcc, 1, v50
	s_and_b64 exec, exec, vcc
	s_cbranch_execz .LBB19_206
; %bb.205:
	v_mov_b32_e32 v37, 0
	v_mov_b32_e32 v36, v2
	v_lshl_add_u64 v[36:37], v[36:37], 2, v[34:35]
	global_store_dword v[36:37], v32, off
.LBB19_206:
	s_or_b64 exec, exec, s[0:1]
	v_cmp_lt_u32_e32 vcc, v3, v67
	s_or_b64 s[2:3], s[38:39], vcc
	s_and_saveexec_b64 s[0:1], s[2:3]
	s_cbranch_execz .LBB19_209
; %bb.207:
	v_and_b32_e32 v1, 1, v66
	v_cmp_eq_u32_e32 vcc, 1, v1
	s_and_b64 exec, exec, vcc
	s_cbranch_execz .LBB19_209
; %bb.208:
	v_mov_b32_e32 v37, 0
	v_mov_b32_e32 v36, v3
	v_lshl_add_u64 v[36:37], v[36:37], 2, v[34:35]
	global_store_dword v[36:37], v33, off
.LBB19_209:
	s_or_b64 exec, exec, s[0:1]
	v_cmp_lt_u32_e32 vcc, v4, v67
	s_or_b64 s[2:3], s[38:39], vcc
	s_and_saveexec_b64 s[0:1], s[2:3]
	s_cbranch_execz .LBB19_212
; %bb.210:
	v_and_b32_e32 v1, 1, v65
	v_cmp_eq_u32_e32 vcc, 1, v1
	s_and_b64 exec, exec, vcc
	s_cbranch_execz .LBB19_212
; %bb.211:
	v_mov_b32_e32 v37, 0
	v_mov_b32_e32 v36, v4
	v_lshl_add_u64 v[36:37], v[36:37], 2, v[34:35]
	global_store_dword v[36:37], v30, off
.LBB19_212:
	;; [unrolled: 16-line block ×13, first 2 shown]
	s_or_b64 exec, exec, s[0:1]
	v_cmp_lt_u32_e32 vcc, v16, v67
	s_or_b64 s[2:3], s[38:39], vcc
	s_and_saveexec_b64 s[0:1], s[2:3]
	s_cbranch_execz .LBB19_248
; %bb.246:
	v_and_b32_e32 v1, 1, v53
	v_cmp_eq_u32_e32 vcc, 1, v1
	s_and_b64 exec, exec, vcc
	s_cbranch_execz .LBB19_248
; %bb.247:
	v_mov_b32_e32 v17, 0
	v_lshl_add_u64 v[34:35], v[16:17], 2, v[34:35]
	global_store_dword v[34:35], v52, off
.LBB19_248:
	s_or_b64 exec, exec, s[0:1]
	s_branch .LBB19_201
.LBB19_249:
	v_cmp_eq_u32_e32 vcc, 1, v50
	s_and_saveexec_b64 s[0:1], vcc
	s_cbranch_execz .LBB19_251
; %bb.250:
	v_sub_u32_e32 v1, v2, v48
	v_lshlrev_b32_e32 v1, 2, v1
	ds_write_b32 v1, v32
.LBB19_251:
	s_or_b64 exec, exec, s[0:1]
	v_and_b32_e32 v1, 1, v66
	v_cmp_eq_u32_e32 vcc, 1, v1
	s_and_saveexec_b64 s[0:1], vcc
	s_cbranch_execz .LBB19_253
; %bb.252:
	v_sub_u32_e32 v1, v3, v48
	v_lshlrev_b32_e32 v1, 2, v1
	ds_write_b32 v1, v33
.LBB19_253:
	s_or_b64 exec, exec, s[0:1]
	v_and_b32_e32 v1, 1, v65
	;; [unrolled: 10-line block ×14, first 2 shown]
	v_cmp_eq_u32_e32 vcc, 1, v1
	s_and_saveexec_b64 s[0:1], vcc
	s_cbranch_execz .LBB19_279
; %bb.278:
	v_sub_u32_e32 v1, v16, v48
	v_lshlrev_b32_e32 v1, 2, v1
	ds_write_b32 v1, v52
.LBB19_279:
	s_or_b64 exec, exec, s[0:1]
	v_cmp_gt_u32_e32 vcc, s16, v0
	s_waitcnt lgkmcnt(0)
	s_barrier
	s_and_saveexec_b64 s[0:1], vcc
	s_cbranch_execz .LBB19_292
; %bb.280:
	v_mov_b32_e32 v49, 0
	s_waitcnt vmcnt(0)
	v_lshlrev_b64 v[2:3], 2, v[18:19]
	v_lshl_add_u64 v[2:3], s[42:43], 0, v[2:3]
	v_lshlrev_b64 v[4:5], 2, v[48:49]
	v_xad_u32 v1, v0, -1, s16
	s_movk_i32 s2, 0x1ff
	v_lshl_add_u64 v[2:3], v[2:3], 0, v[4:5]
	v_cmp_lt_u32_e32 vcc, s2, v1
	s_mov_b64 s[4:5], -1
	s_and_saveexec_b64 s[2:3], vcc
	s_cbranch_execz .LBB19_289
; %bb.281:
	v_lshrrev_b32_e32 v8, 9, v1
	v_add_u32_e32 v4, -1, v8
	v_or_b32_e32 v1, 0x200, v0
	v_lshrrev_b32_e32 v5, 1, v4
	v_add_u32_e32 v10, 1, v5
	v_cmp_lt_u32_e32 vcc, 13, v4
	v_lshlrev_b32_e32 v9, 2, v0
	v_mov_b64_e32 v[4:5], v[0:1]
	s_and_saveexec_b64 s[4:5], vcc
	s_cbranch_execz .LBB19_285
; %bb.282:
	v_and_b32_e32 v11, -8, v10
	s_mov_b32 s8, 0
	s_mov_b64 s[6:7], 0
	v_mov_b32_e32 v7, 0
	v_mov_b32_e32 v12, v9
	v_mov_b64_e32 v[4:5], v[0:1]
.LBB19_283:                             ; =>This Inner Loop Header: Depth=1
	ds_read2st64_b32 v[14:15], v12 offset1:8
	v_mov_b32_e32 v6, v4
	ds_read2st64_b32 v[28:29], v12 offset0:48 offset1:56
	v_lshl_add_u64 v[46:47], v[6:7], 2, v[2:3]
	v_mov_b32_e32 v6, v5
	ds_read2st64_b32 v[20:21], v12 offset0:16 offset1:24
	ds_read2st64_b32 v[32:33], v12 offset0:64 offset1:72
	v_lshl_add_u64 v[50:51], v[6:7], 2, v[2:3]
	v_add_u32_e32 v6, 0x400, v4
	ds_read2st64_b32 v[36:37], v12 offset0:80 offset1:88
	v_lshl_add_u64 v[52:53], v[6:7], 2, v[2:3]
	v_add_u32_e32 v6, 0x800, v4
	v_add_u32_e32 v16, 0x400, v5
	v_mov_b32_e32 v17, v7
	v_add_u32_e32 v22, 0x800, v5
	ds_read2st64_b32 v[24:25], v12 offset0:32 offset1:40
	v_mov_b32_e32 v23, v7
	ds_read2st64_b32 v[40:41], v12 offset0:96 offset1:104
	v_lshl_add_u64 v[54:55], v[6:7], 2, v[2:3]
	v_add_u32_e32 v6, 0xc00, v4
	v_add_u32_e32 v26, 0xc00, v5
	v_mov_b32_e32 v27, v7
	ds_read2st64_b32 v[44:45], v12 offset0:112 offset1:120
	v_lshl_add_u64 v[16:17], v[16:17], 2, v[2:3]
	v_lshl_add_u64 v[22:23], v[22:23], 2, v[2:3]
	s_waitcnt lgkmcnt(7)
	global_store_dword v[46:47], v14, off
	global_store_dword v[50:51], v15, off
	s_waitcnt lgkmcnt(5)
	global_store_dword v[52:53], v20, off
	global_store_dword v[16:17], v21, off
	;; [unrolled: 3-line block ×3, first 2 shown]
	v_lshl_add_u64 v[14:15], v[6:7], 2, v[2:3]
	v_add_u32_e32 v6, 0x1000, v4
	v_add_u32_e32 v30, 0x1000, v5
	v_mov_b32_e32 v31, v7
	v_lshl_add_u64 v[26:27], v[26:27], 2, v[2:3]
	global_store_dword v[14:15], v28, off
	global_store_dword v[26:27], v29, off
	v_lshl_add_u64 v[14:15], v[6:7], 2, v[2:3]
	v_add_u32_e32 v6, 0x1400, v4
	v_add_u32_e32 v34, 0x1400, v5
	v_mov_b32_e32 v35, v7
	v_add_u32_e32 v11, -8, v11
	v_lshl_add_u64 v[30:31], v[30:31], 2, v[2:3]
	global_store_dword v[14:15], v32, off
	global_store_dword v[30:31], v33, off
	v_lshl_add_u64 v[14:15], v[6:7], 2, v[2:3]
	v_add_u32_e32 v6, 0x1800, v4
	v_add_u32_e32 v38, 0x1800, v5
	v_mov_b32_e32 v39, v7
	s_add_i32 s8, s8, 16
	v_lshl_add_u64 v[34:35], v[34:35], 2, v[2:3]
	v_cmp_eq_u32_e32 vcc, 0, v11
	global_store_dword v[14:15], v36, off
	global_store_dword v[34:35], v37, off
	v_lshl_add_u64 v[14:15], v[6:7], 2, v[2:3]
	v_add_u32_e32 v6, 0x1c00, v4
	v_add_u32_e32 v42, 0x1c00, v5
	v_mov_b32_e32 v43, v7
	v_add_u32_e32 v12, 0x8000, v12
	v_lshl_add_u64 v[38:39], v[38:39], 2, v[2:3]
	v_add_u32_e32 v5, 0x2000, v5
	v_mov_b32_e32 v49, s8
	s_or_b64 s[6:7], vcc, s[6:7]
	v_add_u32_e32 v4, 0x2000, v4
	s_waitcnt lgkmcnt(1)
	global_store_dword v[14:15], v40, off
	global_store_dword v[38:39], v41, off
	v_lshl_add_u64 v[14:15], v[6:7], 2, v[2:3]
	v_lshl_add_u64 v[42:43], v[42:43], 2, v[2:3]
	s_waitcnt lgkmcnt(0)
	global_store_dword v[14:15], v44, off
	global_store_dword v[42:43], v45, off
	s_andn2_b64 exec, exec, s[6:7]
	s_cbranch_execnz .LBB19_283
; %bb.284:
	s_or_b64 exec, exec, s[6:7]
.LBB19_285:
	s_or_b64 exec, exec, s[4:5]
	v_and_b32_e32 v1, 7, v10
	v_cmp_ne_u32_e32 vcc, 0, v1
	s_and_saveexec_b64 s[4:5], vcc
	s_cbranch_execz .LBB19_288
; %bb.286:
	v_lshl_or_b32 v9, v49, 11, v9
	s_mov_b64 s[6:7], 0
	v_mov_b32_e32 v7, 0
.LBB19_287:                             ; =>This Inner Loop Header: Depth=1
	ds_read2st64_b32 v[10:11], v9 offset1:8
	v_add_u32_e32 v1, -1, v1
	v_mov_b32_e32 v6, v4
	v_cmp_eq_u32_e32 vcc, 0, v1
	v_add_u32_e32 v4, 0x400, v4
	v_add_u32_e32 v9, 0x1000, v9
	v_lshl_add_u64 v[12:13], v[6:7], 2, v[2:3]
	v_mov_b32_e32 v6, v5
	v_add_u32_e32 v5, 0x400, v5
	s_or_b64 s[6:7], vcc, s[6:7]
	v_lshl_add_u64 v[14:15], v[6:7], 2, v[2:3]
	s_waitcnt lgkmcnt(0)
	global_store_dword v[12:13], v10, off
	global_store_dword v[14:15], v11, off
	s_andn2_b64 exec, exec, s[6:7]
	s_cbranch_execnz .LBB19_287
.LBB19_288:
	s_or_b64 exec, exec, s[4:5]
	v_add_u32_e32 v1, 1, v8
	v_and_b32_e32 v4, 0xfffffe, v1
	v_cmp_ne_u32_e32 vcc, v1, v4
	v_lshl_or_b32 v0, v4, 9, v0
	s_orn2_b64 s[4:5], vcc, exec
.LBB19_289:
	s_or_b64 exec, exec, s[2:3]
	s_and_b64 exec, exec, s[4:5]
	s_cbranch_execz .LBB19_292
; %bb.290:
	v_lshlrev_b32_e32 v4, 2, v0
	s_mov_b64 s[2:3], 0
	v_mov_b32_e32 v1, 0
.LBB19_291:                             ; =>This Inner Loop Header: Depth=1
	ds_read_b32 v5, v4
	v_lshl_add_u64 v[6:7], v[0:1], 2, v[2:3]
	v_add_u32_e32 v0, 0x200, v0
	v_cmp_le_u32_e32 vcc, s16, v0
	v_add_u32_e32 v4, 0x800, v4
	s_or_b64 s[2:3], vcc, s[2:3]
	s_waitcnt lgkmcnt(0)
	global_store_dword v[6:7], v5, off
	s_andn2_b64 exec, exec, s[2:3]
	s_cbranch_execnz .LBB19_291
.LBB19_292:
	s_or_b64 exec, exec, s[0:1]
	s_and_b64 s[0:1], s[18:19], s[34:35]
	s_and_saveexec_b64 s[2:3], s[0:1]
	s_cbranch_execz .LBB19_202
.LBB19_293:
	s_mov_b32 s17, 0
	v_mov_b32_e32 v49, 0
	s_waitcnt vmcnt(0)
	v_lshl_add_u64 v[0:1], v[18:19], 0, s[16:17]
	v_lshl_add_u64 v[0:1], v[0:1], 0, v[48:49]
	global_store_dwordx2 v49, v[0:1], s[36:37]
	s_endpgm
	.section	.rodata,"a",@progbits
	.p2align	6, 0x0
	.amdhsa_kernel _ZN7rocprim17ROCPRIM_400000_NS6detail17trampoline_kernelINS0_14default_configENS1_25partition_config_selectorILNS1_17partition_subalgoE9EiibEEZZNS1_14partition_implILS5_9ELb0ES3_jPKiN6thrust23THRUST_200600_302600_NS17counting_iteratorIiNSB_11use_defaultESD_SD_EEPNS0_10empty_typeENS0_5tupleIJPiSF_EEENSH_IJSI_SG_EEENS0_18inequality_wrapperIN6hipcub16HIPCUB_304000_NS8EqualityEEEPlJSF_EEE10hipError_tPvRmT3_T4_T5_T6_T7_T9_mT8_P12ihipStream_tbDpT10_ENKUlT_T0_E_clISt17integral_constantIbLb1EES1A_EEDaS15_S16_EUlS15_E_NS1_11comp_targetILNS1_3genE5ELNS1_11target_archE942ELNS1_3gpuE9ELNS1_3repE0EEENS1_30default_config_static_selectorELNS0_4arch9wavefront6targetE1EEEvT1_
		.amdhsa_group_segment_fixed_size 30728
		.amdhsa_private_segment_fixed_size 0
		.amdhsa_kernarg_size 128
		.amdhsa_user_sgpr_count 2
		.amdhsa_user_sgpr_dispatch_ptr 0
		.amdhsa_user_sgpr_queue_ptr 0
		.amdhsa_user_sgpr_kernarg_segment_ptr 1
		.amdhsa_user_sgpr_dispatch_id 0
		.amdhsa_user_sgpr_kernarg_preload_length 0
		.amdhsa_user_sgpr_kernarg_preload_offset 0
		.amdhsa_user_sgpr_private_segment_size 0
		.amdhsa_uses_dynamic_stack 0
		.amdhsa_enable_private_segment 0
		.amdhsa_system_sgpr_workgroup_id_x 1
		.amdhsa_system_sgpr_workgroup_id_y 0
		.amdhsa_system_sgpr_workgroup_id_z 0
		.amdhsa_system_sgpr_workgroup_info 0
		.amdhsa_system_vgpr_workitem_id 0
		.amdhsa_next_free_vgpr 102
		.amdhsa_next_free_sgpr 53
		.amdhsa_accum_offset 104
		.amdhsa_reserve_vcc 1
		.amdhsa_float_round_mode_32 0
		.amdhsa_float_round_mode_16_64 0
		.amdhsa_float_denorm_mode_32 3
		.amdhsa_float_denorm_mode_16_64 3
		.amdhsa_dx10_clamp 1
		.amdhsa_ieee_mode 1
		.amdhsa_fp16_overflow 0
		.amdhsa_tg_split 0
		.amdhsa_exception_fp_ieee_invalid_op 0
		.amdhsa_exception_fp_denorm_src 0
		.amdhsa_exception_fp_ieee_div_zero 0
		.amdhsa_exception_fp_ieee_overflow 0
		.amdhsa_exception_fp_ieee_underflow 0
		.amdhsa_exception_fp_ieee_inexact 0
		.amdhsa_exception_int_div_zero 0
	.end_amdhsa_kernel
	.section	.text._ZN7rocprim17ROCPRIM_400000_NS6detail17trampoline_kernelINS0_14default_configENS1_25partition_config_selectorILNS1_17partition_subalgoE9EiibEEZZNS1_14partition_implILS5_9ELb0ES3_jPKiN6thrust23THRUST_200600_302600_NS17counting_iteratorIiNSB_11use_defaultESD_SD_EEPNS0_10empty_typeENS0_5tupleIJPiSF_EEENSH_IJSI_SG_EEENS0_18inequality_wrapperIN6hipcub16HIPCUB_304000_NS8EqualityEEEPlJSF_EEE10hipError_tPvRmT3_T4_T5_T6_T7_T9_mT8_P12ihipStream_tbDpT10_ENKUlT_T0_E_clISt17integral_constantIbLb1EES1A_EEDaS15_S16_EUlS15_E_NS1_11comp_targetILNS1_3genE5ELNS1_11target_archE942ELNS1_3gpuE9ELNS1_3repE0EEENS1_30default_config_static_selectorELNS0_4arch9wavefront6targetE1EEEvT1_,"axG",@progbits,_ZN7rocprim17ROCPRIM_400000_NS6detail17trampoline_kernelINS0_14default_configENS1_25partition_config_selectorILNS1_17partition_subalgoE9EiibEEZZNS1_14partition_implILS5_9ELb0ES3_jPKiN6thrust23THRUST_200600_302600_NS17counting_iteratorIiNSB_11use_defaultESD_SD_EEPNS0_10empty_typeENS0_5tupleIJPiSF_EEENSH_IJSI_SG_EEENS0_18inequality_wrapperIN6hipcub16HIPCUB_304000_NS8EqualityEEEPlJSF_EEE10hipError_tPvRmT3_T4_T5_T6_T7_T9_mT8_P12ihipStream_tbDpT10_ENKUlT_T0_E_clISt17integral_constantIbLb1EES1A_EEDaS15_S16_EUlS15_E_NS1_11comp_targetILNS1_3genE5ELNS1_11target_archE942ELNS1_3gpuE9ELNS1_3repE0EEENS1_30default_config_static_selectorELNS0_4arch9wavefront6targetE1EEEvT1_,comdat
.Lfunc_end19:
	.size	_ZN7rocprim17ROCPRIM_400000_NS6detail17trampoline_kernelINS0_14default_configENS1_25partition_config_selectorILNS1_17partition_subalgoE9EiibEEZZNS1_14partition_implILS5_9ELb0ES3_jPKiN6thrust23THRUST_200600_302600_NS17counting_iteratorIiNSB_11use_defaultESD_SD_EEPNS0_10empty_typeENS0_5tupleIJPiSF_EEENSH_IJSI_SG_EEENS0_18inequality_wrapperIN6hipcub16HIPCUB_304000_NS8EqualityEEEPlJSF_EEE10hipError_tPvRmT3_T4_T5_T6_T7_T9_mT8_P12ihipStream_tbDpT10_ENKUlT_T0_E_clISt17integral_constantIbLb1EES1A_EEDaS15_S16_EUlS15_E_NS1_11comp_targetILNS1_3genE5ELNS1_11target_archE942ELNS1_3gpuE9ELNS1_3repE0EEENS1_30default_config_static_selectorELNS0_4arch9wavefront6targetE1EEEvT1_, .Lfunc_end19-_ZN7rocprim17ROCPRIM_400000_NS6detail17trampoline_kernelINS0_14default_configENS1_25partition_config_selectorILNS1_17partition_subalgoE9EiibEEZZNS1_14partition_implILS5_9ELb0ES3_jPKiN6thrust23THRUST_200600_302600_NS17counting_iteratorIiNSB_11use_defaultESD_SD_EEPNS0_10empty_typeENS0_5tupleIJPiSF_EEENSH_IJSI_SG_EEENS0_18inequality_wrapperIN6hipcub16HIPCUB_304000_NS8EqualityEEEPlJSF_EEE10hipError_tPvRmT3_T4_T5_T6_T7_T9_mT8_P12ihipStream_tbDpT10_ENKUlT_T0_E_clISt17integral_constantIbLb1EES1A_EEDaS15_S16_EUlS15_E_NS1_11comp_targetILNS1_3genE5ELNS1_11target_archE942ELNS1_3gpuE9ELNS1_3repE0EEENS1_30default_config_static_selectorELNS0_4arch9wavefront6targetE1EEEvT1_
                                        ; -- End function
	.section	.AMDGPU.csdata,"",@progbits
; Kernel info:
; codeLenInByte = 10932
; NumSgprs: 59
; NumVgprs: 102
; NumAgprs: 0
; TotalNumVgprs: 102
; ScratchSize: 0
; MemoryBound: 0
; FloatMode: 240
; IeeeMode: 1
; LDSByteSize: 30728 bytes/workgroup (compile time only)
; SGPRBlocks: 7
; VGPRBlocks: 12
; NumSGPRsForWavesPerEU: 59
; NumVGPRsForWavesPerEU: 102
; AccumOffset: 104
; Occupancy: 4
; WaveLimiterHint : 1
; COMPUTE_PGM_RSRC2:SCRATCH_EN: 0
; COMPUTE_PGM_RSRC2:USER_SGPR: 2
; COMPUTE_PGM_RSRC2:TRAP_HANDLER: 0
; COMPUTE_PGM_RSRC2:TGID_X_EN: 1
; COMPUTE_PGM_RSRC2:TGID_Y_EN: 0
; COMPUTE_PGM_RSRC2:TGID_Z_EN: 0
; COMPUTE_PGM_RSRC2:TIDIG_COMP_CNT: 0
; COMPUTE_PGM_RSRC3_GFX90A:ACCUM_OFFSET: 25
; COMPUTE_PGM_RSRC3_GFX90A:TG_SPLIT: 0
	.section	.text._ZN7rocprim17ROCPRIM_400000_NS6detail17trampoline_kernelINS0_14default_configENS1_25partition_config_selectorILNS1_17partition_subalgoE9EiibEEZZNS1_14partition_implILS5_9ELb0ES3_jPKiN6thrust23THRUST_200600_302600_NS17counting_iteratorIiNSB_11use_defaultESD_SD_EEPNS0_10empty_typeENS0_5tupleIJPiSF_EEENSH_IJSI_SG_EEENS0_18inequality_wrapperIN6hipcub16HIPCUB_304000_NS8EqualityEEEPlJSF_EEE10hipError_tPvRmT3_T4_T5_T6_T7_T9_mT8_P12ihipStream_tbDpT10_ENKUlT_T0_E_clISt17integral_constantIbLb1EES1A_EEDaS15_S16_EUlS15_E_NS1_11comp_targetILNS1_3genE4ELNS1_11target_archE910ELNS1_3gpuE8ELNS1_3repE0EEENS1_30default_config_static_selectorELNS0_4arch9wavefront6targetE1EEEvT1_,"axG",@progbits,_ZN7rocprim17ROCPRIM_400000_NS6detail17trampoline_kernelINS0_14default_configENS1_25partition_config_selectorILNS1_17partition_subalgoE9EiibEEZZNS1_14partition_implILS5_9ELb0ES3_jPKiN6thrust23THRUST_200600_302600_NS17counting_iteratorIiNSB_11use_defaultESD_SD_EEPNS0_10empty_typeENS0_5tupleIJPiSF_EEENSH_IJSI_SG_EEENS0_18inequality_wrapperIN6hipcub16HIPCUB_304000_NS8EqualityEEEPlJSF_EEE10hipError_tPvRmT3_T4_T5_T6_T7_T9_mT8_P12ihipStream_tbDpT10_ENKUlT_T0_E_clISt17integral_constantIbLb1EES1A_EEDaS15_S16_EUlS15_E_NS1_11comp_targetILNS1_3genE4ELNS1_11target_archE910ELNS1_3gpuE8ELNS1_3repE0EEENS1_30default_config_static_selectorELNS0_4arch9wavefront6targetE1EEEvT1_,comdat
	.protected	_ZN7rocprim17ROCPRIM_400000_NS6detail17trampoline_kernelINS0_14default_configENS1_25partition_config_selectorILNS1_17partition_subalgoE9EiibEEZZNS1_14partition_implILS5_9ELb0ES3_jPKiN6thrust23THRUST_200600_302600_NS17counting_iteratorIiNSB_11use_defaultESD_SD_EEPNS0_10empty_typeENS0_5tupleIJPiSF_EEENSH_IJSI_SG_EEENS0_18inequality_wrapperIN6hipcub16HIPCUB_304000_NS8EqualityEEEPlJSF_EEE10hipError_tPvRmT3_T4_T5_T6_T7_T9_mT8_P12ihipStream_tbDpT10_ENKUlT_T0_E_clISt17integral_constantIbLb1EES1A_EEDaS15_S16_EUlS15_E_NS1_11comp_targetILNS1_3genE4ELNS1_11target_archE910ELNS1_3gpuE8ELNS1_3repE0EEENS1_30default_config_static_selectorELNS0_4arch9wavefront6targetE1EEEvT1_ ; -- Begin function _ZN7rocprim17ROCPRIM_400000_NS6detail17trampoline_kernelINS0_14default_configENS1_25partition_config_selectorILNS1_17partition_subalgoE9EiibEEZZNS1_14partition_implILS5_9ELb0ES3_jPKiN6thrust23THRUST_200600_302600_NS17counting_iteratorIiNSB_11use_defaultESD_SD_EEPNS0_10empty_typeENS0_5tupleIJPiSF_EEENSH_IJSI_SG_EEENS0_18inequality_wrapperIN6hipcub16HIPCUB_304000_NS8EqualityEEEPlJSF_EEE10hipError_tPvRmT3_T4_T5_T6_T7_T9_mT8_P12ihipStream_tbDpT10_ENKUlT_T0_E_clISt17integral_constantIbLb1EES1A_EEDaS15_S16_EUlS15_E_NS1_11comp_targetILNS1_3genE4ELNS1_11target_archE910ELNS1_3gpuE8ELNS1_3repE0EEENS1_30default_config_static_selectorELNS0_4arch9wavefront6targetE1EEEvT1_
	.globl	_ZN7rocprim17ROCPRIM_400000_NS6detail17trampoline_kernelINS0_14default_configENS1_25partition_config_selectorILNS1_17partition_subalgoE9EiibEEZZNS1_14partition_implILS5_9ELb0ES3_jPKiN6thrust23THRUST_200600_302600_NS17counting_iteratorIiNSB_11use_defaultESD_SD_EEPNS0_10empty_typeENS0_5tupleIJPiSF_EEENSH_IJSI_SG_EEENS0_18inequality_wrapperIN6hipcub16HIPCUB_304000_NS8EqualityEEEPlJSF_EEE10hipError_tPvRmT3_T4_T5_T6_T7_T9_mT8_P12ihipStream_tbDpT10_ENKUlT_T0_E_clISt17integral_constantIbLb1EES1A_EEDaS15_S16_EUlS15_E_NS1_11comp_targetILNS1_3genE4ELNS1_11target_archE910ELNS1_3gpuE8ELNS1_3repE0EEENS1_30default_config_static_selectorELNS0_4arch9wavefront6targetE1EEEvT1_
	.p2align	8
	.type	_ZN7rocprim17ROCPRIM_400000_NS6detail17trampoline_kernelINS0_14default_configENS1_25partition_config_selectorILNS1_17partition_subalgoE9EiibEEZZNS1_14partition_implILS5_9ELb0ES3_jPKiN6thrust23THRUST_200600_302600_NS17counting_iteratorIiNSB_11use_defaultESD_SD_EEPNS0_10empty_typeENS0_5tupleIJPiSF_EEENSH_IJSI_SG_EEENS0_18inequality_wrapperIN6hipcub16HIPCUB_304000_NS8EqualityEEEPlJSF_EEE10hipError_tPvRmT3_T4_T5_T6_T7_T9_mT8_P12ihipStream_tbDpT10_ENKUlT_T0_E_clISt17integral_constantIbLb1EES1A_EEDaS15_S16_EUlS15_E_NS1_11comp_targetILNS1_3genE4ELNS1_11target_archE910ELNS1_3gpuE8ELNS1_3repE0EEENS1_30default_config_static_selectorELNS0_4arch9wavefront6targetE1EEEvT1_,@function
_ZN7rocprim17ROCPRIM_400000_NS6detail17trampoline_kernelINS0_14default_configENS1_25partition_config_selectorILNS1_17partition_subalgoE9EiibEEZZNS1_14partition_implILS5_9ELb0ES3_jPKiN6thrust23THRUST_200600_302600_NS17counting_iteratorIiNSB_11use_defaultESD_SD_EEPNS0_10empty_typeENS0_5tupleIJPiSF_EEENSH_IJSI_SG_EEENS0_18inequality_wrapperIN6hipcub16HIPCUB_304000_NS8EqualityEEEPlJSF_EEE10hipError_tPvRmT3_T4_T5_T6_T7_T9_mT8_P12ihipStream_tbDpT10_ENKUlT_T0_E_clISt17integral_constantIbLb1EES1A_EEDaS15_S16_EUlS15_E_NS1_11comp_targetILNS1_3genE4ELNS1_11target_archE910ELNS1_3gpuE8ELNS1_3repE0EEENS1_30default_config_static_selectorELNS0_4arch9wavefront6targetE1EEEvT1_: ; @_ZN7rocprim17ROCPRIM_400000_NS6detail17trampoline_kernelINS0_14default_configENS1_25partition_config_selectorILNS1_17partition_subalgoE9EiibEEZZNS1_14partition_implILS5_9ELb0ES3_jPKiN6thrust23THRUST_200600_302600_NS17counting_iteratorIiNSB_11use_defaultESD_SD_EEPNS0_10empty_typeENS0_5tupleIJPiSF_EEENSH_IJSI_SG_EEENS0_18inequality_wrapperIN6hipcub16HIPCUB_304000_NS8EqualityEEEPlJSF_EEE10hipError_tPvRmT3_T4_T5_T6_T7_T9_mT8_P12ihipStream_tbDpT10_ENKUlT_T0_E_clISt17integral_constantIbLb1EES1A_EEDaS15_S16_EUlS15_E_NS1_11comp_targetILNS1_3genE4ELNS1_11target_archE910ELNS1_3gpuE8ELNS1_3repE0EEENS1_30default_config_static_selectorELNS0_4arch9wavefront6targetE1EEEvT1_
; %bb.0:
	.section	.rodata,"a",@progbits
	.p2align	6, 0x0
	.amdhsa_kernel _ZN7rocprim17ROCPRIM_400000_NS6detail17trampoline_kernelINS0_14default_configENS1_25partition_config_selectorILNS1_17partition_subalgoE9EiibEEZZNS1_14partition_implILS5_9ELb0ES3_jPKiN6thrust23THRUST_200600_302600_NS17counting_iteratorIiNSB_11use_defaultESD_SD_EEPNS0_10empty_typeENS0_5tupleIJPiSF_EEENSH_IJSI_SG_EEENS0_18inequality_wrapperIN6hipcub16HIPCUB_304000_NS8EqualityEEEPlJSF_EEE10hipError_tPvRmT3_T4_T5_T6_T7_T9_mT8_P12ihipStream_tbDpT10_ENKUlT_T0_E_clISt17integral_constantIbLb1EES1A_EEDaS15_S16_EUlS15_E_NS1_11comp_targetILNS1_3genE4ELNS1_11target_archE910ELNS1_3gpuE8ELNS1_3repE0EEENS1_30default_config_static_selectorELNS0_4arch9wavefront6targetE1EEEvT1_
		.amdhsa_group_segment_fixed_size 0
		.amdhsa_private_segment_fixed_size 0
		.amdhsa_kernarg_size 128
		.amdhsa_user_sgpr_count 2
		.amdhsa_user_sgpr_dispatch_ptr 0
		.amdhsa_user_sgpr_queue_ptr 0
		.amdhsa_user_sgpr_kernarg_segment_ptr 1
		.amdhsa_user_sgpr_dispatch_id 0
		.amdhsa_user_sgpr_kernarg_preload_length 0
		.amdhsa_user_sgpr_kernarg_preload_offset 0
		.amdhsa_user_sgpr_private_segment_size 0
		.amdhsa_uses_dynamic_stack 0
		.amdhsa_enable_private_segment 0
		.amdhsa_system_sgpr_workgroup_id_x 1
		.amdhsa_system_sgpr_workgroup_id_y 0
		.amdhsa_system_sgpr_workgroup_id_z 0
		.amdhsa_system_sgpr_workgroup_info 0
		.amdhsa_system_vgpr_workitem_id 0
		.amdhsa_next_free_vgpr 1
		.amdhsa_next_free_sgpr 0
		.amdhsa_accum_offset 4
		.amdhsa_reserve_vcc 0
		.amdhsa_float_round_mode_32 0
		.amdhsa_float_round_mode_16_64 0
		.amdhsa_float_denorm_mode_32 3
		.amdhsa_float_denorm_mode_16_64 3
		.amdhsa_dx10_clamp 1
		.amdhsa_ieee_mode 1
		.amdhsa_fp16_overflow 0
		.amdhsa_tg_split 0
		.amdhsa_exception_fp_ieee_invalid_op 0
		.amdhsa_exception_fp_denorm_src 0
		.amdhsa_exception_fp_ieee_div_zero 0
		.amdhsa_exception_fp_ieee_overflow 0
		.amdhsa_exception_fp_ieee_underflow 0
		.amdhsa_exception_fp_ieee_inexact 0
		.amdhsa_exception_int_div_zero 0
	.end_amdhsa_kernel
	.section	.text._ZN7rocprim17ROCPRIM_400000_NS6detail17trampoline_kernelINS0_14default_configENS1_25partition_config_selectorILNS1_17partition_subalgoE9EiibEEZZNS1_14partition_implILS5_9ELb0ES3_jPKiN6thrust23THRUST_200600_302600_NS17counting_iteratorIiNSB_11use_defaultESD_SD_EEPNS0_10empty_typeENS0_5tupleIJPiSF_EEENSH_IJSI_SG_EEENS0_18inequality_wrapperIN6hipcub16HIPCUB_304000_NS8EqualityEEEPlJSF_EEE10hipError_tPvRmT3_T4_T5_T6_T7_T9_mT8_P12ihipStream_tbDpT10_ENKUlT_T0_E_clISt17integral_constantIbLb1EES1A_EEDaS15_S16_EUlS15_E_NS1_11comp_targetILNS1_3genE4ELNS1_11target_archE910ELNS1_3gpuE8ELNS1_3repE0EEENS1_30default_config_static_selectorELNS0_4arch9wavefront6targetE1EEEvT1_,"axG",@progbits,_ZN7rocprim17ROCPRIM_400000_NS6detail17trampoline_kernelINS0_14default_configENS1_25partition_config_selectorILNS1_17partition_subalgoE9EiibEEZZNS1_14partition_implILS5_9ELb0ES3_jPKiN6thrust23THRUST_200600_302600_NS17counting_iteratorIiNSB_11use_defaultESD_SD_EEPNS0_10empty_typeENS0_5tupleIJPiSF_EEENSH_IJSI_SG_EEENS0_18inequality_wrapperIN6hipcub16HIPCUB_304000_NS8EqualityEEEPlJSF_EEE10hipError_tPvRmT3_T4_T5_T6_T7_T9_mT8_P12ihipStream_tbDpT10_ENKUlT_T0_E_clISt17integral_constantIbLb1EES1A_EEDaS15_S16_EUlS15_E_NS1_11comp_targetILNS1_3genE4ELNS1_11target_archE910ELNS1_3gpuE8ELNS1_3repE0EEENS1_30default_config_static_selectorELNS0_4arch9wavefront6targetE1EEEvT1_,comdat
.Lfunc_end20:
	.size	_ZN7rocprim17ROCPRIM_400000_NS6detail17trampoline_kernelINS0_14default_configENS1_25partition_config_selectorILNS1_17partition_subalgoE9EiibEEZZNS1_14partition_implILS5_9ELb0ES3_jPKiN6thrust23THRUST_200600_302600_NS17counting_iteratorIiNSB_11use_defaultESD_SD_EEPNS0_10empty_typeENS0_5tupleIJPiSF_EEENSH_IJSI_SG_EEENS0_18inequality_wrapperIN6hipcub16HIPCUB_304000_NS8EqualityEEEPlJSF_EEE10hipError_tPvRmT3_T4_T5_T6_T7_T9_mT8_P12ihipStream_tbDpT10_ENKUlT_T0_E_clISt17integral_constantIbLb1EES1A_EEDaS15_S16_EUlS15_E_NS1_11comp_targetILNS1_3genE4ELNS1_11target_archE910ELNS1_3gpuE8ELNS1_3repE0EEENS1_30default_config_static_selectorELNS0_4arch9wavefront6targetE1EEEvT1_, .Lfunc_end20-_ZN7rocprim17ROCPRIM_400000_NS6detail17trampoline_kernelINS0_14default_configENS1_25partition_config_selectorILNS1_17partition_subalgoE9EiibEEZZNS1_14partition_implILS5_9ELb0ES3_jPKiN6thrust23THRUST_200600_302600_NS17counting_iteratorIiNSB_11use_defaultESD_SD_EEPNS0_10empty_typeENS0_5tupleIJPiSF_EEENSH_IJSI_SG_EEENS0_18inequality_wrapperIN6hipcub16HIPCUB_304000_NS8EqualityEEEPlJSF_EEE10hipError_tPvRmT3_T4_T5_T6_T7_T9_mT8_P12ihipStream_tbDpT10_ENKUlT_T0_E_clISt17integral_constantIbLb1EES1A_EEDaS15_S16_EUlS15_E_NS1_11comp_targetILNS1_3genE4ELNS1_11target_archE910ELNS1_3gpuE8ELNS1_3repE0EEENS1_30default_config_static_selectorELNS0_4arch9wavefront6targetE1EEEvT1_
                                        ; -- End function
	.section	.AMDGPU.csdata,"",@progbits
; Kernel info:
; codeLenInByte = 0
; NumSgprs: 6
; NumVgprs: 0
; NumAgprs: 0
; TotalNumVgprs: 0
; ScratchSize: 0
; MemoryBound: 0
; FloatMode: 240
; IeeeMode: 1
; LDSByteSize: 0 bytes/workgroup (compile time only)
; SGPRBlocks: 0
; VGPRBlocks: 0
; NumSGPRsForWavesPerEU: 6
; NumVGPRsForWavesPerEU: 1
; AccumOffset: 4
; Occupancy: 8
; WaveLimiterHint : 0
; COMPUTE_PGM_RSRC2:SCRATCH_EN: 0
; COMPUTE_PGM_RSRC2:USER_SGPR: 2
; COMPUTE_PGM_RSRC2:TRAP_HANDLER: 0
; COMPUTE_PGM_RSRC2:TGID_X_EN: 1
; COMPUTE_PGM_RSRC2:TGID_Y_EN: 0
; COMPUTE_PGM_RSRC2:TGID_Z_EN: 0
; COMPUTE_PGM_RSRC2:TIDIG_COMP_CNT: 0
; COMPUTE_PGM_RSRC3_GFX90A:ACCUM_OFFSET: 0
; COMPUTE_PGM_RSRC3_GFX90A:TG_SPLIT: 0
	.section	.text._ZN7rocprim17ROCPRIM_400000_NS6detail17trampoline_kernelINS0_14default_configENS1_25partition_config_selectorILNS1_17partition_subalgoE9EiibEEZZNS1_14partition_implILS5_9ELb0ES3_jPKiN6thrust23THRUST_200600_302600_NS17counting_iteratorIiNSB_11use_defaultESD_SD_EEPNS0_10empty_typeENS0_5tupleIJPiSF_EEENSH_IJSI_SG_EEENS0_18inequality_wrapperIN6hipcub16HIPCUB_304000_NS8EqualityEEEPlJSF_EEE10hipError_tPvRmT3_T4_T5_T6_T7_T9_mT8_P12ihipStream_tbDpT10_ENKUlT_T0_E_clISt17integral_constantIbLb1EES1A_EEDaS15_S16_EUlS15_E_NS1_11comp_targetILNS1_3genE3ELNS1_11target_archE908ELNS1_3gpuE7ELNS1_3repE0EEENS1_30default_config_static_selectorELNS0_4arch9wavefront6targetE1EEEvT1_,"axG",@progbits,_ZN7rocprim17ROCPRIM_400000_NS6detail17trampoline_kernelINS0_14default_configENS1_25partition_config_selectorILNS1_17partition_subalgoE9EiibEEZZNS1_14partition_implILS5_9ELb0ES3_jPKiN6thrust23THRUST_200600_302600_NS17counting_iteratorIiNSB_11use_defaultESD_SD_EEPNS0_10empty_typeENS0_5tupleIJPiSF_EEENSH_IJSI_SG_EEENS0_18inequality_wrapperIN6hipcub16HIPCUB_304000_NS8EqualityEEEPlJSF_EEE10hipError_tPvRmT3_T4_T5_T6_T7_T9_mT8_P12ihipStream_tbDpT10_ENKUlT_T0_E_clISt17integral_constantIbLb1EES1A_EEDaS15_S16_EUlS15_E_NS1_11comp_targetILNS1_3genE3ELNS1_11target_archE908ELNS1_3gpuE7ELNS1_3repE0EEENS1_30default_config_static_selectorELNS0_4arch9wavefront6targetE1EEEvT1_,comdat
	.protected	_ZN7rocprim17ROCPRIM_400000_NS6detail17trampoline_kernelINS0_14default_configENS1_25partition_config_selectorILNS1_17partition_subalgoE9EiibEEZZNS1_14partition_implILS5_9ELb0ES3_jPKiN6thrust23THRUST_200600_302600_NS17counting_iteratorIiNSB_11use_defaultESD_SD_EEPNS0_10empty_typeENS0_5tupleIJPiSF_EEENSH_IJSI_SG_EEENS0_18inequality_wrapperIN6hipcub16HIPCUB_304000_NS8EqualityEEEPlJSF_EEE10hipError_tPvRmT3_T4_T5_T6_T7_T9_mT8_P12ihipStream_tbDpT10_ENKUlT_T0_E_clISt17integral_constantIbLb1EES1A_EEDaS15_S16_EUlS15_E_NS1_11comp_targetILNS1_3genE3ELNS1_11target_archE908ELNS1_3gpuE7ELNS1_3repE0EEENS1_30default_config_static_selectorELNS0_4arch9wavefront6targetE1EEEvT1_ ; -- Begin function _ZN7rocprim17ROCPRIM_400000_NS6detail17trampoline_kernelINS0_14default_configENS1_25partition_config_selectorILNS1_17partition_subalgoE9EiibEEZZNS1_14partition_implILS5_9ELb0ES3_jPKiN6thrust23THRUST_200600_302600_NS17counting_iteratorIiNSB_11use_defaultESD_SD_EEPNS0_10empty_typeENS0_5tupleIJPiSF_EEENSH_IJSI_SG_EEENS0_18inequality_wrapperIN6hipcub16HIPCUB_304000_NS8EqualityEEEPlJSF_EEE10hipError_tPvRmT3_T4_T5_T6_T7_T9_mT8_P12ihipStream_tbDpT10_ENKUlT_T0_E_clISt17integral_constantIbLb1EES1A_EEDaS15_S16_EUlS15_E_NS1_11comp_targetILNS1_3genE3ELNS1_11target_archE908ELNS1_3gpuE7ELNS1_3repE0EEENS1_30default_config_static_selectorELNS0_4arch9wavefront6targetE1EEEvT1_
	.globl	_ZN7rocprim17ROCPRIM_400000_NS6detail17trampoline_kernelINS0_14default_configENS1_25partition_config_selectorILNS1_17partition_subalgoE9EiibEEZZNS1_14partition_implILS5_9ELb0ES3_jPKiN6thrust23THRUST_200600_302600_NS17counting_iteratorIiNSB_11use_defaultESD_SD_EEPNS0_10empty_typeENS0_5tupleIJPiSF_EEENSH_IJSI_SG_EEENS0_18inequality_wrapperIN6hipcub16HIPCUB_304000_NS8EqualityEEEPlJSF_EEE10hipError_tPvRmT3_T4_T5_T6_T7_T9_mT8_P12ihipStream_tbDpT10_ENKUlT_T0_E_clISt17integral_constantIbLb1EES1A_EEDaS15_S16_EUlS15_E_NS1_11comp_targetILNS1_3genE3ELNS1_11target_archE908ELNS1_3gpuE7ELNS1_3repE0EEENS1_30default_config_static_selectorELNS0_4arch9wavefront6targetE1EEEvT1_
	.p2align	8
	.type	_ZN7rocprim17ROCPRIM_400000_NS6detail17trampoline_kernelINS0_14default_configENS1_25partition_config_selectorILNS1_17partition_subalgoE9EiibEEZZNS1_14partition_implILS5_9ELb0ES3_jPKiN6thrust23THRUST_200600_302600_NS17counting_iteratorIiNSB_11use_defaultESD_SD_EEPNS0_10empty_typeENS0_5tupleIJPiSF_EEENSH_IJSI_SG_EEENS0_18inequality_wrapperIN6hipcub16HIPCUB_304000_NS8EqualityEEEPlJSF_EEE10hipError_tPvRmT3_T4_T5_T6_T7_T9_mT8_P12ihipStream_tbDpT10_ENKUlT_T0_E_clISt17integral_constantIbLb1EES1A_EEDaS15_S16_EUlS15_E_NS1_11comp_targetILNS1_3genE3ELNS1_11target_archE908ELNS1_3gpuE7ELNS1_3repE0EEENS1_30default_config_static_selectorELNS0_4arch9wavefront6targetE1EEEvT1_,@function
_ZN7rocprim17ROCPRIM_400000_NS6detail17trampoline_kernelINS0_14default_configENS1_25partition_config_selectorILNS1_17partition_subalgoE9EiibEEZZNS1_14partition_implILS5_9ELb0ES3_jPKiN6thrust23THRUST_200600_302600_NS17counting_iteratorIiNSB_11use_defaultESD_SD_EEPNS0_10empty_typeENS0_5tupleIJPiSF_EEENSH_IJSI_SG_EEENS0_18inequality_wrapperIN6hipcub16HIPCUB_304000_NS8EqualityEEEPlJSF_EEE10hipError_tPvRmT3_T4_T5_T6_T7_T9_mT8_P12ihipStream_tbDpT10_ENKUlT_T0_E_clISt17integral_constantIbLb1EES1A_EEDaS15_S16_EUlS15_E_NS1_11comp_targetILNS1_3genE3ELNS1_11target_archE908ELNS1_3gpuE7ELNS1_3repE0EEENS1_30default_config_static_selectorELNS0_4arch9wavefront6targetE1EEEvT1_: ; @_ZN7rocprim17ROCPRIM_400000_NS6detail17trampoline_kernelINS0_14default_configENS1_25partition_config_selectorILNS1_17partition_subalgoE9EiibEEZZNS1_14partition_implILS5_9ELb0ES3_jPKiN6thrust23THRUST_200600_302600_NS17counting_iteratorIiNSB_11use_defaultESD_SD_EEPNS0_10empty_typeENS0_5tupleIJPiSF_EEENSH_IJSI_SG_EEENS0_18inequality_wrapperIN6hipcub16HIPCUB_304000_NS8EqualityEEEPlJSF_EEE10hipError_tPvRmT3_T4_T5_T6_T7_T9_mT8_P12ihipStream_tbDpT10_ENKUlT_T0_E_clISt17integral_constantIbLb1EES1A_EEDaS15_S16_EUlS15_E_NS1_11comp_targetILNS1_3genE3ELNS1_11target_archE908ELNS1_3gpuE7ELNS1_3repE0EEENS1_30default_config_static_selectorELNS0_4arch9wavefront6targetE1EEEvT1_
; %bb.0:
	.section	.rodata,"a",@progbits
	.p2align	6, 0x0
	.amdhsa_kernel _ZN7rocprim17ROCPRIM_400000_NS6detail17trampoline_kernelINS0_14default_configENS1_25partition_config_selectorILNS1_17partition_subalgoE9EiibEEZZNS1_14partition_implILS5_9ELb0ES3_jPKiN6thrust23THRUST_200600_302600_NS17counting_iteratorIiNSB_11use_defaultESD_SD_EEPNS0_10empty_typeENS0_5tupleIJPiSF_EEENSH_IJSI_SG_EEENS0_18inequality_wrapperIN6hipcub16HIPCUB_304000_NS8EqualityEEEPlJSF_EEE10hipError_tPvRmT3_T4_T5_T6_T7_T9_mT8_P12ihipStream_tbDpT10_ENKUlT_T0_E_clISt17integral_constantIbLb1EES1A_EEDaS15_S16_EUlS15_E_NS1_11comp_targetILNS1_3genE3ELNS1_11target_archE908ELNS1_3gpuE7ELNS1_3repE0EEENS1_30default_config_static_selectorELNS0_4arch9wavefront6targetE1EEEvT1_
		.amdhsa_group_segment_fixed_size 0
		.amdhsa_private_segment_fixed_size 0
		.amdhsa_kernarg_size 128
		.amdhsa_user_sgpr_count 2
		.amdhsa_user_sgpr_dispatch_ptr 0
		.amdhsa_user_sgpr_queue_ptr 0
		.amdhsa_user_sgpr_kernarg_segment_ptr 1
		.amdhsa_user_sgpr_dispatch_id 0
		.amdhsa_user_sgpr_kernarg_preload_length 0
		.amdhsa_user_sgpr_kernarg_preload_offset 0
		.amdhsa_user_sgpr_private_segment_size 0
		.amdhsa_uses_dynamic_stack 0
		.amdhsa_enable_private_segment 0
		.amdhsa_system_sgpr_workgroup_id_x 1
		.amdhsa_system_sgpr_workgroup_id_y 0
		.amdhsa_system_sgpr_workgroup_id_z 0
		.amdhsa_system_sgpr_workgroup_info 0
		.amdhsa_system_vgpr_workitem_id 0
		.amdhsa_next_free_vgpr 1
		.amdhsa_next_free_sgpr 0
		.amdhsa_accum_offset 4
		.amdhsa_reserve_vcc 0
		.amdhsa_float_round_mode_32 0
		.amdhsa_float_round_mode_16_64 0
		.amdhsa_float_denorm_mode_32 3
		.amdhsa_float_denorm_mode_16_64 3
		.amdhsa_dx10_clamp 1
		.amdhsa_ieee_mode 1
		.amdhsa_fp16_overflow 0
		.amdhsa_tg_split 0
		.amdhsa_exception_fp_ieee_invalid_op 0
		.amdhsa_exception_fp_denorm_src 0
		.amdhsa_exception_fp_ieee_div_zero 0
		.amdhsa_exception_fp_ieee_overflow 0
		.amdhsa_exception_fp_ieee_underflow 0
		.amdhsa_exception_fp_ieee_inexact 0
		.amdhsa_exception_int_div_zero 0
	.end_amdhsa_kernel
	.section	.text._ZN7rocprim17ROCPRIM_400000_NS6detail17trampoline_kernelINS0_14default_configENS1_25partition_config_selectorILNS1_17partition_subalgoE9EiibEEZZNS1_14partition_implILS5_9ELb0ES3_jPKiN6thrust23THRUST_200600_302600_NS17counting_iteratorIiNSB_11use_defaultESD_SD_EEPNS0_10empty_typeENS0_5tupleIJPiSF_EEENSH_IJSI_SG_EEENS0_18inequality_wrapperIN6hipcub16HIPCUB_304000_NS8EqualityEEEPlJSF_EEE10hipError_tPvRmT3_T4_T5_T6_T7_T9_mT8_P12ihipStream_tbDpT10_ENKUlT_T0_E_clISt17integral_constantIbLb1EES1A_EEDaS15_S16_EUlS15_E_NS1_11comp_targetILNS1_3genE3ELNS1_11target_archE908ELNS1_3gpuE7ELNS1_3repE0EEENS1_30default_config_static_selectorELNS0_4arch9wavefront6targetE1EEEvT1_,"axG",@progbits,_ZN7rocprim17ROCPRIM_400000_NS6detail17trampoline_kernelINS0_14default_configENS1_25partition_config_selectorILNS1_17partition_subalgoE9EiibEEZZNS1_14partition_implILS5_9ELb0ES3_jPKiN6thrust23THRUST_200600_302600_NS17counting_iteratorIiNSB_11use_defaultESD_SD_EEPNS0_10empty_typeENS0_5tupleIJPiSF_EEENSH_IJSI_SG_EEENS0_18inequality_wrapperIN6hipcub16HIPCUB_304000_NS8EqualityEEEPlJSF_EEE10hipError_tPvRmT3_T4_T5_T6_T7_T9_mT8_P12ihipStream_tbDpT10_ENKUlT_T0_E_clISt17integral_constantIbLb1EES1A_EEDaS15_S16_EUlS15_E_NS1_11comp_targetILNS1_3genE3ELNS1_11target_archE908ELNS1_3gpuE7ELNS1_3repE0EEENS1_30default_config_static_selectorELNS0_4arch9wavefront6targetE1EEEvT1_,comdat
.Lfunc_end21:
	.size	_ZN7rocprim17ROCPRIM_400000_NS6detail17trampoline_kernelINS0_14default_configENS1_25partition_config_selectorILNS1_17partition_subalgoE9EiibEEZZNS1_14partition_implILS5_9ELb0ES3_jPKiN6thrust23THRUST_200600_302600_NS17counting_iteratorIiNSB_11use_defaultESD_SD_EEPNS0_10empty_typeENS0_5tupleIJPiSF_EEENSH_IJSI_SG_EEENS0_18inequality_wrapperIN6hipcub16HIPCUB_304000_NS8EqualityEEEPlJSF_EEE10hipError_tPvRmT3_T4_T5_T6_T7_T9_mT8_P12ihipStream_tbDpT10_ENKUlT_T0_E_clISt17integral_constantIbLb1EES1A_EEDaS15_S16_EUlS15_E_NS1_11comp_targetILNS1_3genE3ELNS1_11target_archE908ELNS1_3gpuE7ELNS1_3repE0EEENS1_30default_config_static_selectorELNS0_4arch9wavefront6targetE1EEEvT1_, .Lfunc_end21-_ZN7rocprim17ROCPRIM_400000_NS6detail17trampoline_kernelINS0_14default_configENS1_25partition_config_selectorILNS1_17partition_subalgoE9EiibEEZZNS1_14partition_implILS5_9ELb0ES3_jPKiN6thrust23THRUST_200600_302600_NS17counting_iteratorIiNSB_11use_defaultESD_SD_EEPNS0_10empty_typeENS0_5tupleIJPiSF_EEENSH_IJSI_SG_EEENS0_18inequality_wrapperIN6hipcub16HIPCUB_304000_NS8EqualityEEEPlJSF_EEE10hipError_tPvRmT3_T4_T5_T6_T7_T9_mT8_P12ihipStream_tbDpT10_ENKUlT_T0_E_clISt17integral_constantIbLb1EES1A_EEDaS15_S16_EUlS15_E_NS1_11comp_targetILNS1_3genE3ELNS1_11target_archE908ELNS1_3gpuE7ELNS1_3repE0EEENS1_30default_config_static_selectorELNS0_4arch9wavefront6targetE1EEEvT1_
                                        ; -- End function
	.section	.AMDGPU.csdata,"",@progbits
; Kernel info:
; codeLenInByte = 0
; NumSgprs: 6
; NumVgprs: 0
; NumAgprs: 0
; TotalNumVgprs: 0
; ScratchSize: 0
; MemoryBound: 0
; FloatMode: 240
; IeeeMode: 1
; LDSByteSize: 0 bytes/workgroup (compile time only)
; SGPRBlocks: 0
; VGPRBlocks: 0
; NumSGPRsForWavesPerEU: 6
; NumVGPRsForWavesPerEU: 1
; AccumOffset: 4
; Occupancy: 8
; WaveLimiterHint : 0
; COMPUTE_PGM_RSRC2:SCRATCH_EN: 0
; COMPUTE_PGM_RSRC2:USER_SGPR: 2
; COMPUTE_PGM_RSRC2:TRAP_HANDLER: 0
; COMPUTE_PGM_RSRC2:TGID_X_EN: 1
; COMPUTE_PGM_RSRC2:TGID_Y_EN: 0
; COMPUTE_PGM_RSRC2:TGID_Z_EN: 0
; COMPUTE_PGM_RSRC2:TIDIG_COMP_CNT: 0
; COMPUTE_PGM_RSRC3_GFX90A:ACCUM_OFFSET: 0
; COMPUTE_PGM_RSRC3_GFX90A:TG_SPLIT: 0
	.section	.text._ZN7rocprim17ROCPRIM_400000_NS6detail17trampoline_kernelINS0_14default_configENS1_25partition_config_selectorILNS1_17partition_subalgoE9EiibEEZZNS1_14partition_implILS5_9ELb0ES3_jPKiN6thrust23THRUST_200600_302600_NS17counting_iteratorIiNSB_11use_defaultESD_SD_EEPNS0_10empty_typeENS0_5tupleIJPiSF_EEENSH_IJSI_SG_EEENS0_18inequality_wrapperIN6hipcub16HIPCUB_304000_NS8EqualityEEEPlJSF_EEE10hipError_tPvRmT3_T4_T5_T6_T7_T9_mT8_P12ihipStream_tbDpT10_ENKUlT_T0_E_clISt17integral_constantIbLb1EES1A_EEDaS15_S16_EUlS15_E_NS1_11comp_targetILNS1_3genE2ELNS1_11target_archE906ELNS1_3gpuE6ELNS1_3repE0EEENS1_30default_config_static_selectorELNS0_4arch9wavefront6targetE1EEEvT1_,"axG",@progbits,_ZN7rocprim17ROCPRIM_400000_NS6detail17trampoline_kernelINS0_14default_configENS1_25partition_config_selectorILNS1_17partition_subalgoE9EiibEEZZNS1_14partition_implILS5_9ELb0ES3_jPKiN6thrust23THRUST_200600_302600_NS17counting_iteratorIiNSB_11use_defaultESD_SD_EEPNS0_10empty_typeENS0_5tupleIJPiSF_EEENSH_IJSI_SG_EEENS0_18inequality_wrapperIN6hipcub16HIPCUB_304000_NS8EqualityEEEPlJSF_EEE10hipError_tPvRmT3_T4_T5_T6_T7_T9_mT8_P12ihipStream_tbDpT10_ENKUlT_T0_E_clISt17integral_constantIbLb1EES1A_EEDaS15_S16_EUlS15_E_NS1_11comp_targetILNS1_3genE2ELNS1_11target_archE906ELNS1_3gpuE6ELNS1_3repE0EEENS1_30default_config_static_selectorELNS0_4arch9wavefront6targetE1EEEvT1_,comdat
	.protected	_ZN7rocprim17ROCPRIM_400000_NS6detail17trampoline_kernelINS0_14default_configENS1_25partition_config_selectorILNS1_17partition_subalgoE9EiibEEZZNS1_14partition_implILS5_9ELb0ES3_jPKiN6thrust23THRUST_200600_302600_NS17counting_iteratorIiNSB_11use_defaultESD_SD_EEPNS0_10empty_typeENS0_5tupleIJPiSF_EEENSH_IJSI_SG_EEENS0_18inequality_wrapperIN6hipcub16HIPCUB_304000_NS8EqualityEEEPlJSF_EEE10hipError_tPvRmT3_T4_T5_T6_T7_T9_mT8_P12ihipStream_tbDpT10_ENKUlT_T0_E_clISt17integral_constantIbLb1EES1A_EEDaS15_S16_EUlS15_E_NS1_11comp_targetILNS1_3genE2ELNS1_11target_archE906ELNS1_3gpuE6ELNS1_3repE0EEENS1_30default_config_static_selectorELNS0_4arch9wavefront6targetE1EEEvT1_ ; -- Begin function _ZN7rocprim17ROCPRIM_400000_NS6detail17trampoline_kernelINS0_14default_configENS1_25partition_config_selectorILNS1_17partition_subalgoE9EiibEEZZNS1_14partition_implILS5_9ELb0ES3_jPKiN6thrust23THRUST_200600_302600_NS17counting_iteratorIiNSB_11use_defaultESD_SD_EEPNS0_10empty_typeENS0_5tupleIJPiSF_EEENSH_IJSI_SG_EEENS0_18inequality_wrapperIN6hipcub16HIPCUB_304000_NS8EqualityEEEPlJSF_EEE10hipError_tPvRmT3_T4_T5_T6_T7_T9_mT8_P12ihipStream_tbDpT10_ENKUlT_T0_E_clISt17integral_constantIbLb1EES1A_EEDaS15_S16_EUlS15_E_NS1_11comp_targetILNS1_3genE2ELNS1_11target_archE906ELNS1_3gpuE6ELNS1_3repE0EEENS1_30default_config_static_selectorELNS0_4arch9wavefront6targetE1EEEvT1_
	.globl	_ZN7rocprim17ROCPRIM_400000_NS6detail17trampoline_kernelINS0_14default_configENS1_25partition_config_selectorILNS1_17partition_subalgoE9EiibEEZZNS1_14partition_implILS5_9ELb0ES3_jPKiN6thrust23THRUST_200600_302600_NS17counting_iteratorIiNSB_11use_defaultESD_SD_EEPNS0_10empty_typeENS0_5tupleIJPiSF_EEENSH_IJSI_SG_EEENS0_18inequality_wrapperIN6hipcub16HIPCUB_304000_NS8EqualityEEEPlJSF_EEE10hipError_tPvRmT3_T4_T5_T6_T7_T9_mT8_P12ihipStream_tbDpT10_ENKUlT_T0_E_clISt17integral_constantIbLb1EES1A_EEDaS15_S16_EUlS15_E_NS1_11comp_targetILNS1_3genE2ELNS1_11target_archE906ELNS1_3gpuE6ELNS1_3repE0EEENS1_30default_config_static_selectorELNS0_4arch9wavefront6targetE1EEEvT1_
	.p2align	8
	.type	_ZN7rocprim17ROCPRIM_400000_NS6detail17trampoline_kernelINS0_14default_configENS1_25partition_config_selectorILNS1_17partition_subalgoE9EiibEEZZNS1_14partition_implILS5_9ELb0ES3_jPKiN6thrust23THRUST_200600_302600_NS17counting_iteratorIiNSB_11use_defaultESD_SD_EEPNS0_10empty_typeENS0_5tupleIJPiSF_EEENSH_IJSI_SG_EEENS0_18inequality_wrapperIN6hipcub16HIPCUB_304000_NS8EqualityEEEPlJSF_EEE10hipError_tPvRmT3_T4_T5_T6_T7_T9_mT8_P12ihipStream_tbDpT10_ENKUlT_T0_E_clISt17integral_constantIbLb1EES1A_EEDaS15_S16_EUlS15_E_NS1_11comp_targetILNS1_3genE2ELNS1_11target_archE906ELNS1_3gpuE6ELNS1_3repE0EEENS1_30default_config_static_selectorELNS0_4arch9wavefront6targetE1EEEvT1_,@function
_ZN7rocprim17ROCPRIM_400000_NS6detail17trampoline_kernelINS0_14default_configENS1_25partition_config_selectorILNS1_17partition_subalgoE9EiibEEZZNS1_14partition_implILS5_9ELb0ES3_jPKiN6thrust23THRUST_200600_302600_NS17counting_iteratorIiNSB_11use_defaultESD_SD_EEPNS0_10empty_typeENS0_5tupleIJPiSF_EEENSH_IJSI_SG_EEENS0_18inequality_wrapperIN6hipcub16HIPCUB_304000_NS8EqualityEEEPlJSF_EEE10hipError_tPvRmT3_T4_T5_T6_T7_T9_mT8_P12ihipStream_tbDpT10_ENKUlT_T0_E_clISt17integral_constantIbLb1EES1A_EEDaS15_S16_EUlS15_E_NS1_11comp_targetILNS1_3genE2ELNS1_11target_archE906ELNS1_3gpuE6ELNS1_3repE0EEENS1_30default_config_static_selectorELNS0_4arch9wavefront6targetE1EEEvT1_: ; @_ZN7rocprim17ROCPRIM_400000_NS6detail17trampoline_kernelINS0_14default_configENS1_25partition_config_selectorILNS1_17partition_subalgoE9EiibEEZZNS1_14partition_implILS5_9ELb0ES3_jPKiN6thrust23THRUST_200600_302600_NS17counting_iteratorIiNSB_11use_defaultESD_SD_EEPNS0_10empty_typeENS0_5tupleIJPiSF_EEENSH_IJSI_SG_EEENS0_18inequality_wrapperIN6hipcub16HIPCUB_304000_NS8EqualityEEEPlJSF_EEE10hipError_tPvRmT3_T4_T5_T6_T7_T9_mT8_P12ihipStream_tbDpT10_ENKUlT_T0_E_clISt17integral_constantIbLb1EES1A_EEDaS15_S16_EUlS15_E_NS1_11comp_targetILNS1_3genE2ELNS1_11target_archE906ELNS1_3gpuE6ELNS1_3repE0EEENS1_30default_config_static_selectorELNS0_4arch9wavefront6targetE1EEEvT1_
; %bb.0:
	.section	.rodata,"a",@progbits
	.p2align	6, 0x0
	.amdhsa_kernel _ZN7rocprim17ROCPRIM_400000_NS6detail17trampoline_kernelINS0_14default_configENS1_25partition_config_selectorILNS1_17partition_subalgoE9EiibEEZZNS1_14partition_implILS5_9ELb0ES3_jPKiN6thrust23THRUST_200600_302600_NS17counting_iteratorIiNSB_11use_defaultESD_SD_EEPNS0_10empty_typeENS0_5tupleIJPiSF_EEENSH_IJSI_SG_EEENS0_18inequality_wrapperIN6hipcub16HIPCUB_304000_NS8EqualityEEEPlJSF_EEE10hipError_tPvRmT3_T4_T5_T6_T7_T9_mT8_P12ihipStream_tbDpT10_ENKUlT_T0_E_clISt17integral_constantIbLb1EES1A_EEDaS15_S16_EUlS15_E_NS1_11comp_targetILNS1_3genE2ELNS1_11target_archE906ELNS1_3gpuE6ELNS1_3repE0EEENS1_30default_config_static_selectorELNS0_4arch9wavefront6targetE1EEEvT1_
		.amdhsa_group_segment_fixed_size 0
		.amdhsa_private_segment_fixed_size 0
		.amdhsa_kernarg_size 128
		.amdhsa_user_sgpr_count 2
		.amdhsa_user_sgpr_dispatch_ptr 0
		.amdhsa_user_sgpr_queue_ptr 0
		.amdhsa_user_sgpr_kernarg_segment_ptr 1
		.amdhsa_user_sgpr_dispatch_id 0
		.amdhsa_user_sgpr_kernarg_preload_length 0
		.amdhsa_user_sgpr_kernarg_preload_offset 0
		.amdhsa_user_sgpr_private_segment_size 0
		.amdhsa_uses_dynamic_stack 0
		.amdhsa_enable_private_segment 0
		.amdhsa_system_sgpr_workgroup_id_x 1
		.amdhsa_system_sgpr_workgroup_id_y 0
		.amdhsa_system_sgpr_workgroup_id_z 0
		.amdhsa_system_sgpr_workgroup_info 0
		.amdhsa_system_vgpr_workitem_id 0
		.amdhsa_next_free_vgpr 1
		.amdhsa_next_free_sgpr 0
		.amdhsa_accum_offset 4
		.amdhsa_reserve_vcc 0
		.amdhsa_float_round_mode_32 0
		.amdhsa_float_round_mode_16_64 0
		.amdhsa_float_denorm_mode_32 3
		.amdhsa_float_denorm_mode_16_64 3
		.amdhsa_dx10_clamp 1
		.amdhsa_ieee_mode 1
		.amdhsa_fp16_overflow 0
		.amdhsa_tg_split 0
		.amdhsa_exception_fp_ieee_invalid_op 0
		.amdhsa_exception_fp_denorm_src 0
		.amdhsa_exception_fp_ieee_div_zero 0
		.amdhsa_exception_fp_ieee_overflow 0
		.amdhsa_exception_fp_ieee_underflow 0
		.amdhsa_exception_fp_ieee_inexact 0
		.amdhsa_exception_int_div_zero 0
	.end_amdhsa_kernel
	.section	.text._ZN7rocprim17ROCPRIM_400000_NS6detail17trampoline_kernelINS0_14default_configENS1_25partition_config_selectorILNS1_17partition_subalgoE9EiibEEZZNS1_14partition_implILS5_9ELb0ES3_jPKiN6thrust23THRUST_200600_302600_NS17counting_iteratorIiNSB_11use_defaultESD_SD_EEPNS0_10empty_typeENS0_5tupleIJPiSF_EEENSH_IJSI_SG_EEENS0_18inequality_wrapperIN6hipcub16HIPCUB_304000_NS8EqualityEEEPlJSF_EEE10hipError_tPvRmT3_T4_T5_T6_T7_T9_mT8_P12ihipStream_tbDpT10_ENKUlT_T0_E_clISt17integral_constantIbLb1EES1A_EEDaS15_S16_EUlS15_E_NS1_11comp_targetILNS1_3genE2ELNS1_11target_archE906ELNS1_3gpuE6ELNS1_3repE0EEENS1_30default_config_static_selectorELNS0_4arch9wavefront6targetE1EEEvT1_,"axG",@progbits,_ZN7rocprim17ROCPRIM_400000_NS6detail17trampoline_kernelINS0_14default_configENS1_25partition_config_selectorILNS1_17partition_subalgoE9EiibEEZZNS1_14partition_implILS5_9ELb0ES3_jPKiN6thrust23THRUST_200600_302600_NS17counting_iteratorIiNSB_11use_defaultESD_SD_EEPNS0_10empty_typeENS0_5tupleIJPiSF_EEENSH_IJSI_SG_EEENS0_18inequality_wrapperIN6hipcub16HIPCUB_304000_NS8EqualityEEEPlJSF_EEE10hipError_tPvRmT3_T4_T5_T6_T7_T9_mT8_P12ihipStream_tbDpT10_ENKUlT_T0_E_clISt17integral_constantIbLb1EES1A_EEDaS15_S16_EUlS15_E_NS1_11comp_targetILNS1_3genE2ELNS1_11target_archE906ELNS1_3gpuE6ELNS1_3repE0EEENS1_30default_config_static_selectorELNS0_4arch9wavefront6targetE1EEEvT1_,comdat
.Lfunc_end22:
	.size	_ZN7rocprim17ROCPRIM_400000_NS6detail17trampoline_kernelINS0_14default_configENS1_25partition_config_selectorILNS1_17partition_subalgoE9EiibEEZZNS1_14partition_implILS5_9ELb0ES3_jPKiN6thrust23THRUST_200600_302600_NS17counting_iteratorIiNSB_11use_defaultESD_SD_EEPNS0_10empty_typeENS0_5tupleIJPiSF_EEENSH_IJSI_SG_EEENS0_18inequality_wrapperIN6hipcub16HIPCUB_304000_NS8EqualityEEEPlJSF_EEE10hipError_tPvRmT3_T4_T5_T6_T7_T9_mT8_P12ihipStream_tbDpT10_ENKUlT_T0_E_clISt17integral_constantIbLb1EES1A_EEDaS15_S16_EUlS15_E_NS1_11comp_targetILNS1_3genE2ELNS1_11target_archE906ELNS1_3gpuE6ELNS1_3repE0EEENS1_30default_config_static_selectorELNS0_4arch9wavefront6targetE1EEEvT1_, .Lfunc_end22-_ZN7rocprim17ROCPRIM_400000_NS6detail17trampoline_kernelINS0_14default_configENS1_25partition_config_selectorILNS1_17partition_subalgoE9EiibEEZZNS1_14partition_implILS5_9ELb0ES3_jPKiN6thrust23THRUST_200600_302600_NS17counting_iteratorIiNSB_11use_defaultESD_SD_EEPNS0_10empty_typeENS0_5tupleIJPiSF_EEENSH_IJSI_SG_EEENS0_18inequality_wrapperIN6hipcub16HIPCUB_304000_NS8EqualityEEEPlJSF_EEE10hipError_tPvRmT3_T4_T5_T6_T7_T9_mT8_P12ihipStream_tbDpT10_ENKUlT_T0_E_clISt17integral_constantIbLb1EES1A_EEDaS15_S16_EUlS15_E_NS1_11comp_targetILNS1_3genE2ELNS1_11target_archE906ELNS1_3gpuE6ELNS1_3repE0EEENS1_30default_config_static_selectorELNS0_4arch9wavefront6targetE1EEEvT1_
                                        ; -- End function
	.section	.AMDGPU.csdata,"",@progbits
; Kernel info:
; codeLenInByte = 0
; NumSgprs: 6
; NumVgprs: 0
; NumAgprs: 0
; TotalNumVgprs: 0
; ScratchSize: 0
; MemoryBound: 0
; FloatMode: 240
; IeeeMode: 1
; LDSByteSize: 0 bytes/workgroup (compile time only)
; SGPRBlocks: 0
; VGPRBlocks: 0
; NumSGPRsForWavesPerEU: 6
; NumVGPRsForWavesPerEU: 1
; AccumOffset: 4
; Occupancy: 8
; WaveLimiterHint : 0
; COMPUTE_PGM_RSRC2:SCRATCH_EN: 0
; COMPUTE_PGM_RSRC2:USER_SGPR: 2
; COMPUTE_PGM_RSRC2:TRAP_HANDLER: 0
; COMPUTE_PGM_RSRC2:TGID_X_EN: 1
; COMPUTE_PGM_RSRC2:TGID_Y_EN: 0
; COMPUTE_PGM_RSRC2:TGID_Z_EN: 0
; COMPUTE_PGM_RSRC2:TIDIG_COMP_CNT: 0
; COMPUTE_PGM_RSRC3_GFX90A:ACCUM_OFFSET: 0
; COMPUTE_PGM_RSRC3_GFX90A:TG_SPLIT: 0
	.section	.text._ZN7rocprim17ROCPRIM_400000_NS6detail17trampoline_kernelINS0_14default_configENS1_25partition_config_selectorILNS1_17partition_subalgoE9EiibEEZZNS1_14partition_implILS5_9ELb0ES3_jPKiN6thrust23THRUST_200600_302600_NS17counting_iteratorIiNSB_11use_defaultESD_SD_EEPNS0_10empty_typeENS0_5tupleIJPiSF_EEENSH_IJSI_SG_EEENS0_18inequality_wrapperIN6hipcub16HIPCUB_304000_NS8EqualityEEEPlJSF_EEE10hipError_tPvRmT3_T4_T5_T6_T7_T9_mT8_P12ihipStream_tbDpT10_ENKUlT_T0_E_clISt17integral_constantIbLb1EES1A_EEDaS15_S16_EUlS15_E_NS1_11comp_targetILNS1_3genE10ELNS1_11target_archE1200ELNS1_3gpuE4ELNS1_3repE0EEENS1_30default_config_static_selectorELNS0_4arch9wavefront6targetE1EEEvT1_,"axG",@progbits,_ZN7rocprim17ROCPRIM_400000_NS6detail17trampoline_kernelINS0_14default_configENS1_25partition_config_selectorILNS1_17partition_subalgoE9EiibEEZZNS1_14partition_implILS5_9ELb0ES3_jPKiN6thrust23THRUST_200600_302600_NS17counting_iteratorIiNSB_11use_defaultESD_SD_EEPNS0_10empty_typeENS0_5tupleIJPiSF_EEENSH_IJSI_SG_EEENS0_18inequality_wrapperIN6hipcub16HIPCUB_304000_NS8EqualityEEEPlJSF_EEE10hipError_tPvRmT3_T4_T5_T6_T7_T9_mT8_P12ihipStream_tbDpT10_ENKUlT_T0_E_clISt17integral_constantIbLb1EES1A_EEDaS15_S16_EUlS15_E_NS1_11comp_targetILNS1_3genE10ELNS1_11target_archE1200ELNS1_3gpuE4ELNS1_3repE0EEENS1_30default_config_static_selectorELNS0_4arch9wavefront6targetE1EEEvT1_,comdat
	.protected	_ZN7rocprim17ROCPRIM_400000_NS6detail17trampoline_kernelINS0_14default_configENS1_25partition_config_selectorILNS1_17partition_subalgoE9EiibEEZZNS1_14partition_implILS5_9ELb0ES3_jPKiN6thrust23THRUST_200600_302600_NS17counting_iteratorIiNSB_11use_defaultESD_SD_EEPNS0_10empty_typeENS0_5tupleIJPiSF_EEENSH_IJSI_SG_EEENS0_18inequality_wrapperIN6hipcub16HIPCUB_304000_NS8EqualityEEEPlJSF_EEE10hipError_tPvRmT3_T4_T5_T6_T7_T9_mT8_P12ihipStream_tbDpT10_ENKUlT_T0_E_clISt17integral_constantIbLb1EES1A_EEDaS15_S16_EUlS15_E_NS1_11comp_targetILNS1_3genE10ELNS1_11target_archE1200ELNS1_3gpuE4ELNS1_3repE0EEENS1_30default_config_static_selectorELNS0_4arch9wavefront6targetE1EEEvT1_ ; -- Begin function _ZN7rocprim17ROCPRIM_400000_NS6detail17trampoline_kernelINS0_14default_configENS1_25partition_config_selectorILNS1_17partition_subalgoE9EiibEEZZNS1_14partition_implILS5_9ELb0ES3_jPKiN6thrust23THRUST_200600_302600_NS17counting_iteratorIiNSB_11use_defaultESD_SD_EEPNS0_10empty_typeENS0_5tupleIJPiSF_EEENSH_IJSI_SG_EEENS0_18inequality_wrapperIN6hipcub16HIPCUB_304000_NS8EqualityEEEPlJSF_EEE10hipError_tPvRmT3_T4_T5_T6_T7_T9_mT8_P12ihipStream_tbDpT10_ENKUlT_T0_E_clISt17integral_constantIbLb1EES1A_EEDaS15_S16_EUlS15_E_NS1_11comp_targetILNS1_3genE10ELNS1_11target_archE1200ELNS1_3gpuE4ELNS1_3repE0EEENS1_30default_config_static_selectorELNS0_4arch9wavefront6targetE1EEEvT1_
	.globl	_ZN7rocprim17ROCPRIM_400000_NS6detail17trampoline_kernelINS0_14default_configENS1_25partition_config_selectorILNS1_17partition_subalgoE9EiibEEZZNS1_14partition_implILS5_9ELb0ES3_jPKiN6thrust23THRUST_200600_302600_NS17counting_iteratorIiNSB_11use_defaultESD_SD_EEPNS0_10empty_typeENS0_5tupleIJPiSF_EEENSH_IJSI_SG_EEENS0_18inequality_wrapperIN6hipcub16HIPCUB_304000_NS8EqualityEEEPlJSF_EEE10hipError_tPvRmT3_T4_T5_T6_T7_T9_mT8_P12ihipStream_tbDpT10_ENKUlT_T0_E_clISt17integral_constantIbLb1EES1A_EEDaS15_S16_EUlS15_E_NS1_11comp_targetILNS1_3genE10ELNS1_11target_archE1200ELNS1_3gpuE4ELNS1_3repE0EEENS1_30default_config_static_selectorELNS0_4arch9wavefront6targetE1EEEvT1_
	.p2align	8
	.type	_ZN7rocprim17ROCPRIM_400000_NS6detail17trampoline_kernelINS0_14default_configENS1_25partition_config_selectorILNS1_17partition_subalgoE9EiibEEZZNS1_14partition_implILS5_9ELb0ES3_jPKiN6thrust23THRUST_200600_302600_NS17counting_iteratorIiNSB_11use_defaultESD_SD_EEPNS0_10empty_typeENS0_5tupleIJPiSF_EEENSH_IJSI_SG_EEENS0_18inequality_wrapperIN6hipcub16HIPCUB_304000_NS8EqualityEEEPlJSF_EEE10hipError_tPvRmT3_T4_T5_T6_T7_T9_mT8_P12ihipStream_tbDpT10_ENKUlT_T0_E_clISt17integral_constantIbLb1EES1A_EEDaS15_S16_EUlS15_E_NS1_11comp_targetILNS1_3genE10ELNS1_11target_archE1200ELNS1_3gpuE4ELNS1_3repE0EEENS1_30default_config_static_selectorELNS0_4arch9wavefront6targetE1EEEvT1_,@function
_ZN7rocprim17ROCPRIM_400000_NS6detail17trampoline_kernelINS0_14default_configENS1_25partition_config_selectorILNS1_17partition_subalgoE9EiibEEZZNS1_14partition_implILS5_9ELb0ES3_jPKiN6thrust23THRUST_200600_302600_NS17counting_iteratorIiNSB_11use_defaultESD_SD_EEPNS0_10empty_typeENS0_5tupleIJPiSF_EEENSH_IJSI_SG_EEENS0_18inequality_wrapperIN6hipcub16HIPCUB_304000_NS8EqualityEEEPlJSF_EEE10hipError_tPvRmT3_T4_T5_T6_T7_T9_mT8_P12ihipStream_tbDpT10_ENKUlT_T0_E_clISt17integral_constantIbLb1EES1A_EEDaS15_S16_EUlS15_E_NS1_11comp_targetILNS1_3genE10ELNS1_11target_archE1200ELNS1_3gpuE4ELNS1_3repE0EEENS1_30default_config_static_selectorELNS0_4arch9wavefront6targetE1EEEvT1_: ; @_ZN7rocprim17ROCPRIM_400000_NS6detail17trampoline_kernelINS0_14default_configENS1_25partition_config_selectorILNS1_17partition_subalgoE9EiibEEZZNS1_14partition_implILS5_9ELb0ES3_jPKiN6thrust23THRUST_200600_302600_NS17counting_iteratorIiNSB_11use_defaultESD_SD_EEPNS0_10empty_typeENS0_5tupleIJPiSF_EEENSH_IJSI_SG_EEENS0_18inequality_wrapperIN6hipcub16HIPCUB_304000_NS8EqualityEEEPlJSF_EEE10hipError_tPvRmT3_T4_T5_T6_T7_T9_mT8_P12ihipStream_tbDpT10_ENKUlT_T0_E_clISt17integral_constantIbLb1EES1A_EEDaS15_S16_EUlS15_E_NS1_11comp_targetILNS1_3genE10ELNS1_11target_archE1200ELNS1_3gpuE4ELNS1_3repE0EEENS1_30default_config_static_selectorELNS0_4arch9wavefront6targetE1EEEvT1_
; %bb.0:
	.section	.rodata,"a",@progbits
	.p2align	6, 0x0
	.amdhsa_kernel _ZN7rocprim17ROCPRIM_400000_NS6detail17trampoline_kernelINS0_14default_configENS1_25partition_config_selectorILNS1_17partition_subalgoE9EiibEEZZNS1_14partition_implILS5_9ELb0ES3_jPKiN6thrust23THRUST_200600_302600_NS17counting_iteratorIiNSB_11use_defaultESD_SD_EEPNS0_10empty_typeENS0_5tupleIJPiSF_EEENSH_IJSI_SG_EEENS0_18inequality_wrapperIN6hipcub16HIPCUB_304000_NS8EqualityEEEPlJSF_EEE10hipError_tPvRmT3_T4_T5_T6_T7_T9_mT8_P12ihipStream_tbDpT10_ENKUlT_T0_E_clISt17integral_constantIbLb1EES1A_EEDaS15_S16_EUlS15_E_NS1_11comp_targetILNS1_3genE10ELNS1_11target_archE1200ELNS1_3gpuE4ELNS1_3repE0EEENS1_30default_config_static_selectorELNS0_4arch9wavefront6targetE1EEEvT1_
		.amdhsa_group_segment_fixed_size 0
		.amdhsa_private_segment_fixed_size 0
		.amdhsa_kernarg_size 128
		.amdhsa_user_sgpr_count 2
		.amdhsa_user_sgpr_dispatch_ptr 0
		.amdhsa_user_sgpr_queue_ptr 0
		.amdhsa_user_sgpr_kernarg_segment_ptr 1
		.amdhsa_user_sgpr_dispatch_id 0
		.amdhsa_user_sgpr_kernarg_preload_length 0
		.amdhsa_user_sgpr_kernarg_preload_offset 0
		.amdhsa_user_sgpr_private_segment_size 0
		.amdhsa_uses_dynamic_stack 0
		.amdhsa_enable_private_segment 0
		.amdhsa_system_sgpr_workgroup_id_x 1
		.amdhsa_system_sgpr_workgroup_id_y 0
		.amdhsa_system_sgpr_workgroup_id_z 0
		.amdhsa_system_sgpr_workgroup_info 0
		.amdhsa_system_vgpr_workitem_id 0
		.amdhsa_next_free_vgpr 1
		.amdhsa_next_free_sgpr 0
		.amdhsa_accum_offset 4
		.amdhsa_reserve_vcc 0
		.amdhsa_float_round_mode_32 0
		.amdhsa_float_round_mode_16_64 0
		.amdhsa_float_denorm_mode_32 3
		.amdhsa_float_denorm_mode_16_64 3
		.amdhsa_dx10_clamp 1
		.amdhsa_ieee_mode 1
		.amdhsa_fp16_overflow 0
		.amdhsa_tg_split 0
		.amdhsa_exception_fp_ieee_invalid_op 0
		.amdhsa_exception_fp_denorm_src 0
		.amdhsa_exception_fp_ieee_div_zero 0
		.amdhsa_exception_fp_ieee_overflow 0
		.amdhsa_exception_fp_ieee_underflow 0
		.amdhsa_exception_fp_ieee_inexact 0
		.amdhsa_exception_int_div_zero 0
	.end_amdhsa_kernel
	.section	.text._ZN7rocprim17ROCPRIM_400000_NS6detail17trampoline_kernelINS0_14default_configENS1_25partition_config_selectorILNS1_17partition_subalgoE9EiibEEZZNS1_14partition_implILS5_9ELb0ES3_jPKiN6thrust23THRUST_200600_302600_NS17counting_iteratorIiNSB_11use_defaultESD_SD_EEPNS0_10empty_typeENS0_5tupleIJPiSF_EEENSH_IJSI_SG_EEENS0_18inequality_wrapperIN6hipcub16HIPCUB_304000_NS8EqualityEEEPlJSF_EEE10hipError_tPvRmT3_T4_T5_T6_T7_T9_mT8_P12ihipStream_tbDpT10_ENKUlT_T0_E_clISt17integral_constantIbLb1EES1A_EEDaS15_S16_EUlS15_E_NS1_11comp_targetILNS1_3genE10ELNS1_11target_archE1200ELNS1_3gpuE4ELNS1_3repE0EEENS1_30default_config_static_selectorELNS0_4arch9wavefront6targetE1EEEvT1_,"axG",@progbits,_ZN7rocprim17ROCPRIM_400000_NS6detail17trampoline_kernelINS0_14default_configENS1_25partition_config_selectorILNS1_17partition_subalgoE9EiibEEZZNS1_14partition_implILS5_9ELb0ES3_jPKiN6thrust23THRUST_200600_302600_NS17counting_iteratorIiNSB_11use_defaultESD_SD_EEPNS0_10empty_typeENS0_5tupleIJPiSF_EEENSH_IJSI_SG_EEENS0_18inequality_wrapperIN6hipcub16HIPCUB_304000_NS8EqualityEEEPlJSF_EEE10hipError_tPvRmT3_T4_T5_T6_T7_T9_mT8_P12ihipStream_tbDpT10_ENKUlT_T0_E_clISt17integral_constantIbLb1EES1A_EEDaS15_S16_EUlS15_E_NS1_11comp_targetILNS1_3genE10ELNS1_11target_archE1200ELNS1_3gpuE4ELNS1_3repE0EEENS1_30default_config_static_selectorELNS0_4arch9wavefront6targetE1EEEvT1_,comdat
.Lfunc_end23:
	.size	_ZN7rocprim17ROCPRIM_400000_NS6detail17trampoline_kernelINS0_14default_configENS1_25partition_config_selectorILNS1_17partition_subalgoE9EiibEEZZNS1_14partition_implILS5_9ELb0ES3_jPKiN6thrust23THRUST_200600_302600_NS17counting_iteratorIiNSB_11use_defaultESD_SD_EEPNS0_10empty_typeENS0_5tupleIJPiSF_EEENSH_IJSI_SG_EEENS0_18inequality_wrapperIN6hipcub16HIPCUB_304000_NS8EqualityEEEPlJSF_EEE10hipError_tPvRmT3_T4_T5_T6_T7_T9_mT8_P12ihipStream_tbDpT10_ENKUlT_T0_E_clISt17integral_constantIbLb1EES1A_EEDaS15_S16_EUlS15_E_NS1_11comp_targetILNS1_3genE10ELNS1_11target_archE1200ELNS1_3gpuE4ELNS1_3repE0EEENS1_30default_config_static_selectorELNS0_4arch9wavefront6targetE1EEEvT1_, .Lfunc_end23-_ZN7rocprim17ROCPRIM_400000_NS6detail17trampoline_kernelINS0_14default_configENS1_25partition_config_selectorILNS1_17partition_subalgoE9EiibEEZZNS1_14partition_implILS5_9ELb0ES3_jPKiN6thrust23THRUST_200600_302600_NS17counting_iteratorIiNSB_11use_defaultESD_SD_EEPNS0_10empty_typeENS0_5tupleIJPiSF_EEENSH_IJSI_SG_EEENS0_18inequality_wrapperIN6hipcub16HIPCUB_304000_NS8EqualityEEEPlJSF_EEE10hipError_tPvRmT3_T4_T5_T6_T7_T9_mT8_P12ihipStream_tbDpT10_ENKUlT_T0_E_clISt17integral_constantIbLb1EES1A_EEDaS15_S16_EUlS15_E_NS1_11comp_targetILNS1_3genE10ELNS1_11target_archE1200ELNS1_3gpuE4ELNS1_3repE0EEENS1_30default_config_static_selectorELNS0_4arch9wavefront6targetE1EEEvT1_
                                        ; -- End function
	.section	.AMDGPU.csdata,"",@progbits
; Kernel info:
; codeLenInByte = 0
; NumSgprs: 6
; NumVgprs: 0
; NumAgprs: 0
; TotalNumVgprs: 0
; ScratchSize: 0
; MemoryBound: 0
; FloatMode: 240
; IeeeMode: 1
; LDSByteSize: 0 bytes/workgroup (compile time only)
; SGPRBlocks: 0
; VGPRBlocks: 0
; NumSGPRsForWavesPerEU: 6
; NumVGPRsForWavesPerEU: 1
; AccumOffset: 4
; Occupancy: 8
; WaveLimiterHint : 0
; COMPUTE_PGM_RSRC2:SCRATCH_EN: 0
; COMPUTE_PGM_RSRC2:USER_SGPR: 2
; COMPUTE_PGM_RSRC2:TRAP_HANDLER: 0
; COMPUTE_PGM_RSRC2:TGID_X_EN: 1
; COMPUTE_PGM_RSRC2:TGID_Y_EN: 0
; COMPUTE_PGM_RSRC2:TGID_Z_EN: 0
; COMPUTE_PGM_RSRC2:TIDIG_COMP_CNT: 0
; COMPUTE_PGM_RSRC3_GFX90A:ACCUM_OFFSET: 0
; COMPUTE_PGM_RSRC3_GFX90A:TG_SPLIT: 0
	.section	.text._ZN7rocprim17ROCPRIM_400000_NS6detail17trampoline_kernelINS0_14default_configENS1_25partition_config_selectorILNS1_17partition_subalgoE9EiibEEZZNS1_14partition_implILS5_9ELb0ES3_jPKiN6thrust23THRUST_200600_302600_NS17counting_iteratorIiNSB_11use_defaultESD_SD_EEPNS0_10empty_typeENS0_5tupleIJPiSF_EEENSH_IJSI_SG_EEENS0_18inequality_wrapperIN6hipcub16HIPCUB_304000_NS8EqualityEEEPlJSF_EEE10hipError_tPvRmT3_T4_T5_T6_T7_T9_mT8_P12ihipStream_tbDpT10_ENKUlT_T0_E_clISt17integral_constantIbLb1EES1A_EEDaS15_S16_EUlS15_E_NS1_11comp_targetILNS1_3genE9ELNS1_11target_archE1100ELNS1_3gpuE3ELNS1_3repE0EEENS1_30default_config_static_selectorELNS0_4arch9wavefront6targetE1EEEvT1_,"axG",@progbits,_ZN7rocprim17ROCPRIM_400000_NS6detail17trampoline_kernelINS0_14default_configENS1_25partition_config_selectorILNS1_17partition_subalgoE9EiibEEZZNS1_14partition_implILS5_9ELb0ES3_jPKiN6thrust23THRUST_200600_302600_NS17counting_iteratorIiNSB_11use_defaultESD_SD_EEPNS0_10empty_typeENS0_5tupleIJPiSF_EEENSH_IJSI_SG_EEENS0_18inequality_wrapperIN6hipcub16HIPCUB_304000_NS8EqualityEEEPlJSF_EEE10hipError_tPvRmT3_T4_T5_T6_T7_T9_mT8_P12ihipStream_tbDpT10_ENKUlT_T0_E_clISt17integral_constantIbLb1EES1A_EEDaS15_S16_EUlS15_E_NS1_11comp_targetILNS1_3genE9ELNS1_11target_archE1100ELNS1_3gpuE3ELNS1_3repE0EEENS1_30default_config_static_selectorELNS0_4arch9wavefront6targetE1EEEvT1_,comdat
	.protected	_ZN7rocprim17ROCPRIM_400000_NS6detail17trampoline_kernelINS0_14default_configENS1_25partition_config_selectorILNS1_17partition_subalgoE9EiibEEZZNS1_14partition_implILS5_9ELb0ES3_jPKiN6thrust23THRUST_200600_302600_NS17counting_iteratorIiNSB_11use_defaultESD_SD_EEPNS0_10empty_typeENS0_5tupleIJPiSF_EEENSH_IJSI_SG_EEENS0_18inequality_wrapperIN6hipcub16HIPCUB_304000_NS8EqualityEEEPlJSF_EEE10hipError_tPvRmT3_T4_T5_T6_T7_T9_mT8_P12ihipStream_tbDpT10_ENKUlT_T0_E_clISt17integral_constantIbLb1EES1A_EEDaS15_S16_EUlS15_E_NS1_11comp_targetILNS1_3genE9ELNS1_11target_archE1100ELNS1_3gpuE3ELNS1_3repE0EEENS1_30default_config_static_selectorELNS0_4arch9wavefront6targetE1EEEvT1_ ; -- Begin function _ZN7rocprim17ROCPRIM_400000_NS6detail17trampoline_kernelINS0_14default_configENS1_25partition_config_selectorILNS1_17partition_subalgoE9EiibEEZZNS1_14partition_implILS5_9ELb0ES3_jPKiN6thrust23THRUST_200600_302600_NS17counting_iteratorIiNSB_11use_defaultESD_SD_EEPNS0_10empty_typeENS0_5tupleIJPiSF_EEENSH_IJSI_SG_EEENS0_18inequality_wrapperIN6hipcub16HIPCUB_304000_NS8EqualityEEEPlJSF_EEE10hipError_tPvRmT3_T4_T5_T6_T7_T9_mT8_P12ihipStream_tbDpT10_ENKUlT_T0_E_clISt17integral_constantIbLb1EES1A_EEDaS15_S16_EUlS15_E_NS1_11comp_targetILNS1_3genE9ELNS1_11target_archE1100ELNS1_3gpuE3ELNS1_3repE0EEENS1_30default_config_static_selectorELNS0_4arch9wavefront6targetE1EEEvT1_
	.globl	_ZN7rocprim17ROCPRIM_400000_NS6detail17trampoline_kernelINS0_14default_configENS1_25partition_config_selectorILNS1_17partition_subalgoE9EiibEEZZNS1_14partition_implILS5_9ELb0ES3_jPKiN6thrust23THRUST_200600_302600_NS17counting_iteratorIiNSB_11use_defaultESD_SD_EEPNS0_10empty_typeENS0_5tupleIJPiSF_EEENSH_IJSI_SG_EEENS0_18inequality_wrapperIN6hipcub16HIPCUB_304000_NS8EqualityEEEPlJSF_EEE10hipError_tPvRmT3_T4_T5_T6_T7_T9_mT8_P12ihipStream_tbDpT10_ENKUlT_T0_E_clISt17integral_constantIbLb1EES1A_EEDaS15_S16_EUlS15_E_NS1_11comp_targetILNS1_3genE9ELNS1_11target_archE1100ELNS1_3gpuE3ELNS1_3repE0EEENS1_30default_config_static_selectorELNS0_4arch9wavefront6targetE1EEEvT1_
	.p2align	8
	.type	_ZN7rocprim17ROCPRIM_400000_NS6detail17trampoline_kernelINS0_14default_configENS1_25partition_config_selectorILNS1_17partition_subalgoE9EiibEEZZNS1_14partition_implILS5_9ELb0ES3_jPKiN6thrust23THRUST_200600_302600_NS17counting_iteratorIiNSB_11use_defaultESD_SD_EEPNS0_10empty_typeENS0_5tupleIJPiSF_EEENSH_IJSI_SG_EEENS0_18inequality_wrapperIN6hipcub16HIPCUB_304000_NS8EqualityEEEPlJSF_EEE10hipError_tPvRmT3_T4_T5_T6_T7_T9_mT8_P12ihipStream_tbDpT10_ENKUlT_T0_E_clISt17integral_constantIbLb1EES1A_EEDaS15_S16_EUlS15_E_NS1_11comp_targetILNS1_3genE9ELNS1_11target_archE1100ELNS1_3gpuE3ELNS1_3repE0EEENS1_30default_config_static_selectorELNS0_4arch9wavefront6targetE1EEEvT1_,@function
_ZN7rocprim17ROCPRIM_400000_NS6detail17trampoline_kernelINS0_14default_configENS1_25partition_config_selectorILNS1_17partition_subalgoE9EiibEEZZNS1_14partition_implILS5_9ELb0ES3_jPKiN6thrust23THRUST_200600_302600_NS17counting_iteratorIiNSB_11use_defaultESD_SD_EEPNS0_10empty_typeENS0_5tupleIJPiSF_EEENSH_IJSI_SG_EEENS0_18inequality_wrapperIN6hipcub16HIPCUB_304000_NS8EqualityEEEPlJSF_EEE10hipError_tPvRmT3_T4_T5_T6_T7_T9_mT8_P12ihipStream_tbDpT10_ENKUlT_T0_E_clISt17integral_constantIbLb1EES1A_EEDaS15_S16_EUlS15_E_NS1_11comp_targetILNS1_3genE9ELNS1_11target_archE1100ELNS1_3gpuE3ELNS1_3repE0EEENS1_30default_config_static_selectorELNS0_4arch9wavefront6targetE1EEEvT1_: ; @_ZN7rocprim17ROCPRIM_400000_NS6detail17trampoline_kernelINS0_14default_configENS1_25partition_config_selectorILNS1_17partition_subalgoE9EiibEEZZNS1_14partition_implILS5_9ELb0ES3_jPKiN6thrust23THRUST_200600_302600_NS17counting_iteratorIiNSB_11use_defaultESD_SD_EEPNS0_10empty_typeENS0_5tupleIJPiSF_EEENSH_IJSI_SG_EEENS0_18inequality_wrapperIN6hipcub16HIPCUB_304000_NS8EqualityEEEPlJSF_EEE10hipError_tPvRmT3_T4_T5_T6_T7_T9_mT8_P12ihipStream_tbDpT10_ENKUlT_T0_E_clISt17integral_constantIbLb1EES1A_EEDaS15_S16_EUlS15_E_NS1_11comp_targetILNS1_3genE9ELNS1_11target_archE1100ELNS1_3gpuE3ELNS1_3repE0EEENS1_30default_config_static_selectorELNS0_4arch9wavefront6targetE1EEEvT1_
; %bb.0:
	.section	.rodata,"a",@progbits
	.p2align	6, 0x0
	.amdhsa_kernel _ZN7rocprim17ROCPRIM_400000_NS6detail17trampoline_kernelINS0_14default_configENS1_25partition_config_selectorILNS1_17partition_subalgoE9EiibEEZZNS1_14partition_implILS5_9ELb0ES3_jPKiN6thrust23THRUST_200600_302600_NS17counting_iteratorIiNSB_11use_defaultESD_SD_EEPNS0_10empty_typeENS0_5tupleIJPiSF_EEENSH_IJSI_SG_EEENS0_18inequality_wrapperIN6hipcub16HIPCUB_304000_NS8EqualityEEEPlJSF_EEE10hipError_tPvRmT3_T4_T5_T6_T7_T9_mT8_P12ihipStream_tbDpT10_ENKUlT_T0_E_clISt17integral_constantIbLb1EES1A_EEDaS15_S16_EUlS15_E_NS1_11comp_targetILNS1_3genE9ELNS1_11target_archE1100ELNS1_3gpuE3ELNS1_3repE0EEENS1_30default_config_static_selectorELNS0_4arch9wavefront6targetE1EEEvT1_
		.amdhsa_group_segment_fixed_size 0
		.amdhsa_private_segment_fixed_size 0
		.amdhsa_kernarg_size 128
		.amdhsa_user_sgpr_count 2
		.amdhsa_user_sgpr_dispatch_ptr 0
		.amdhsa_user_sgpr_queue_ptr 0
		.amdhsa_user_sgpr_kernarg_segment_ptr 1
		.amdhsa_user_sgpr_dispatch_id 0
		.amdhsa_user_sgpr_kernarg_preload_length 0
		.amdhsa_user_sgpr_kernarg_preload_offset 0
		.amdhsa_user_sgpr_private_segment_size 0
		.amdhsa_uses_dynamic_stack 0
		.amdhsa_enable_private_segment 0
		.amdhsa_system_sgpr_workgroup_id_x 1
		.amdhsa_system_sgpr_workgroup_id_y 0
		.amdhsa_system_sgpr_workgroup_id_z 0
		.amdhsa_system_sgpr_workgroup_info 0
		.amdhsa_system_vgpr_workitem_id 0
		.amdhsa_next_free_vgpr 1
		.amdhsa_next_free_sgpr 0
		.amdhsa_accum_offset 4
		.amdhsa_reserve_vcc 0
		.amdhsa_float_round_mode_32 0
		.amdhsa_float_round_mode_16_64 0
		.amdhsa_float_denorm_mode_32 3
		.amdhsa_float_denorm_mode_16_64 3
		.amdhsa_dx10_clamp 1
		.amdhsa_ieee_mode 1
		.amdhsa_fp16_overflow 0
		.amdhsa_tg_split 0
		.amdhsa_exception_fp_ieee_invalid_op 0
		.amdhsa_exception_fp_denorm_src 0
		.amdhsa_exception_fp_ieee_div_zero 0
		.amdhsa_exception_fp_ieee_overflow 0
		.amdhsa_exception_fp_ieee_underflow 0
		.amdhsa_exception_fp_ieee_inexact 0
		.amdhsa_exception_int_div_zero 0
	.end_amdhsa_kernel
	.section	.text._ZN7rocprim17ROCPRIM_400000_NS6detail17trampoline_kernelINS0_14default_configENS1_25partition_config_selectorILNS1_17partition_subalgoE9EiibEEZZNS1_14partition_implILS5_9ELb0ES3_jPKiN6thrust23THRUST_200600_302600_NS17counting_iteratorIiNSB_11use_defaultESD_SD_EEPNS0_10empty_typeENS0_5tupleIJPiSF_EEENSH_IJSI_SG_EEENS0_18inequality_wrapperIN6hipcub16HIPCUB_304000_NS8EqualityEEEPlJSF_EEE10hipError_tPvRmT3_T4_T5_T6_T7_T9_mT8_P12ihipStream_tbDpT10_ENKUlT_T0_E_clISt17integral_constantIbLb1EES1A_EEDaS15_S16_EUlS15_E_NS1_11comp_targetILNS1_3genE9ELNS1_11target_archE1100ELNS1_3gpuE3ELNS1_3repE0EEENS1_30default_config_static_selectorELNS0_4arch9wavefront6targetE1EEEvT1_,"axG",@progbits,_ZN7rocprim17ROCPRIM_400000_NS6detail17trampoline_kernelINS0_14default_configENS1_25partition_config_selectorILNS1_17partition_subalgoE9EiibEEZZNS1_14partition_implILS5_9ELb0ES3_jPKiN6thrust23THRUST_200600_302600_NS17counting_iteratorIiNSB_11use_defaultESD_SD_EEPNS0_10empty_typeENS0_5tupleIJPiSF_EEENSH_IJSI_SG_EEENS0_18inequality_wrapperIN6hipcub16HIPCUB_304000_NS8EqualityEEEPlJSF_EEE10hipError_tPvRmT3_T4_T5_T6_T7_T9_mT8_P12ihipStream_tbDpT10_ENKUlT_T0_E_clISt17integral_constantIbLb1EES1A_EEDaS15_S16_EUlS15_E_NS1_11comp_targetILNS1_3genE9ELNS1_11target_archE1100ELNS1_3gpuE3ELNS1_3repE0EEENS1_30default_config_static_selectorELNS0_4arch9wavefront6targetE1EEEvT1_,comdat
.Lfunc_end24:
	.size	_ZN7rocprim17ROCPRIM_400000_NS6detail17trampoline_kernelINS0_14default_configENS1_25partition_config_selectorILNS1_17partition_subalgoE9EiibEEZZNS1_14partition_implILS5_9ELb0ES3_jPKiN6thrust23THRUST_200600_302600_NS17counting_iteratorIiNSB_11use_defaultESD_SD_EEPNS0_10empty_typeENS0_5tupleIJPiSF_EEENSH_IJSI_SG_EEENS0_18inequality_wrapperIN6hipcub16HIPCUB_304000_NS8EqualityEEEPlJSF_EEE10hipError_tPvRmT3_T4_T5_T6_T7_T9_mT8_P12ihipStream_tbDpT10_ENKUlT_T0_E_clISt17integral_constantIbLb1EES1A_EEDaS15_S16_EUlS15_E_NS1_11comp_targetILNS1_3genE9ELNS1_11target_archE1100ELNS1_3gpuE3ELNS1_3repE0EEENS1_30default_config_static_selectorELNS0_4arch9wavefront6targetE1EEEvT1_, .Lfunc_end24-_ZN7rocprim17ROCPRIM_400000_NS6detail17trampoline_kernelINS0_14default_configENS1_25partition_config_selectorILNS1_17partition_subalgoE9EiibEEZZNS1_14partition_implILS5_9ELb0ES3_jPKiN6thrust23THRUST_200600_302600_NS17counting_iteratorIiNSB_11use_defaultESD_SD_EEPNS0_10empty_typeENS0_5tupleIJPiSF_EEENSH_IJSI_SG_EEENS0_18inequality_wrapperIN6hipcub16HIPCUB_304000_NS8EqualityEEEPlJSF_EEE10hipError_tPvRmT3_T4_T5_T6_T7_T9_mT8_P12ihipStream_tbDpT10_ENKUlT_T0_E_clISt17integral_constantIbLb1EES1A_EEDaS15_S16_EUlS15_E_NS1_11comp_targetILNS1_3genE9ELNS1_11target_archE1100ELNS1_3gpuE3ELNS1_3repE0EEENS1_30default_config_static_selectorELNS0_4arch9wavefront6targetE1EEEvT1_
                                        ; -- End function
	.section	.AMDGPU.csdata,"",@progbits
; Kernel info:
; codeLenInByte = 0
; NumSgprs: 6
; NumVgprs: 0
; NumAgprs: 0
; TotalNumVgprs: 0
; ScratchSize: 0
; MemoryBound: 0
; FloatMode: 240
; IeeeMode: 1
; LDSByteSize: 0 bytes/workgroup (compile time only)
; SGPRBlocks: 0
; VGPRBlocks: 0
; NumSGPRsForWavesPerEU: 6
; NumVGPRsForWavesPerEU: 1
; AccumOffset: 4
; Occupancy: 8
; WaveLimiterHint : 0
; COMPUTE_PGM_RSRC2:SCRATCH_EN: 0
; COMPUTE_PGM_RSRC2:USER_SGPR: 2
; COMPUTE_PGM_RSRC2:TRAP_HANDLER: 0
; COMPUTE_PGM_RSRC2:TGID_X_EN: 1
; COMPUTE_PGM_RSRC2:TGID_Y_EN: 0
; COMPUTE_PGM_RSRC2:TGID_Z_EN: 0
; COMPUTE_PGM_RSRC2:TIDIG_COMP_CNT: 0
; COMPUTE_PGM_RSRC3_GFX90A:ACCUM_OFFSET: 0
; COMPUTE_PGM_RSRC3_GFX90A:TG_SPLIT: 0
	.section	.text._ZN7rocprim17ROCPRIM_400000_NS6detail17trampoline_kernelINS0_14default_configENS1_25partition_config_selectorILNS1_17partition_subalgoE9EiibEEZZNS1_14partition_implILS5_9ELb0ES3_jPKiN6thrust23THRUST_200600_302600_NS17counting_iteratorIiNSB_11use_defaultESD_SD_EEPNS0_10empty_typeENS0_5tupleIJPiSF_EEENSH_IJSI_SG_EEENS0_18inequality_wrapperIN6hipcub16HIPCUB_304000_NS8EqualityEEEPlJSF_EEE10hipError_tPvRmT3_T4_T5_T6_T7_T9_mT8_P12ihipStream_tbDpT10_ENKUlT_T0_E_clISt17integral_constantIbLb1EES1A_EEDaS15_S16_EUlS15_E_NS1_11comp_targetILNS1_3genE8ELNS1_11target_archE1030ELNS1_3gpuE2ELNS1_3repE0EEENS1_30default_config_static_selectorELNS0_4arch9wavefront6targetE1EEEvT1_,"axG",@progbits,_ZN7rocprim17ROCPRIM_400000_NS6detail17trampoline_kernelINS0_14default_configENS1_25partition_config_selectorILNS1_17partition_subalgoE9EiibEEZZNS1_14partition_implILS5_9ELb0ES3_jPKiN6thrust23THRUST_200600_302600_NS17counting_iteratorIiNSB_11use_defaultESD_SD_EEPNS0_10empty_typeENS0_5tupleIJPiSF_EEENSH_IJSI_SG_EEENS0_18inequality_wrapperIN6hipcub16HIPCUB_304000_NS8EqualityEEEPlJSF_EEE10hipError_tPvRmT3_T4_T5_T6_T7_T9_mT8_P12ihipStream_tbDpT10_ENKUlT_T0_E_clISt17integral_constantIbLb1EES1A_EEDaS15_S16_EUlS15_E_NS1_11comp_targetILNS1_3genE8ELNS1_11target_archE1030ELNS1_3gpuE2ELNS1_3repE0EEENS1_30default_config_static_selectorELNS0_4arch9wavefront6targetE1EEEvT1_,comdat
	.protected	_ZN7rocprim17ROCPRIM_400000_NS6detail17trampoline_kernelINS0_14default_configENS1_25partition_config_selectorILNS1_17partition_subalgoE9EiibEEZZNS1_14partition_implILS5_9ELb0ES3_jPKiN6thrust23THRUST_200600_302600_NS17counting_iteratorIiNSB_11use_defaultESD_SD_EEPNS0_10empty_typeENS0_5tupleIJPiSF_EEENSH_IJSI_SG_EEENS0_18inequality_wrapperIN6hipcub16HIPCUB_304000_NS8EqualityEEEPlJSF_EEE10hipError_tPvRmT3_T4_T5_T6_T7_T9_mT8_P12ihipStream_tbDpT10_ENKUlT_T0_E_clISt17integral_constantIbLb1EES1A_EEDaS15_S16_EUlS15_E_NS1_11comp_targetILNS1_3genE8ELNS1_11target_archE1030ELNS1_3gpuE2ELNS1_3repE0EEENS1_30default_config_static_selectorELNS0_4arch9wavefront6targetE1EEEvT1_ ; -- Begin function _ZN7rocprim17ROCPRIM_400000_NS6detail17trampoline_kernelINS0_14default_configENS1_25partition_config_selectorILNS1_17partition_subalgoE9EiibEEZZNS1_14partition_implILS5_9ELb0ES3_jPKiN6thrust23THRUST_200600_302600_NS17counting_iteratorIiNSB_11use_defaultESD_SD_EEPNS0_10empty_typeENS0_5tupleIJPiSF_EEENSH_IJSI_SG_EEENS0_18inequality_wrapperIN6hipcub16HIPCUB_304000_NS8EqualityEEEPlJSF_EEE10hipError_tPvRmT3_T4_T5_T6_T7_T9_mT8_P12ihipStream_tbDpT10_ENKUlT_T0_E_clISt17integral_constantIbLb1EES1A_EEDaS15_S16_EUlS15_E_NS1_11comp_targetILNS1_3genE8ELNS1_11target_archE1030ELNS1_3gpuE2ELNS1_3repE0EEENS1_30default_config_static_selectorELNS0_4arch9wavefront6targetE1EEEvT1_
	.globl	_ZN7rocprim17ROCPRIM_400000_NS6detail17trampoline_kernelINS0_14default_configENS1_25partition_config_selectorILNS1_17partition_subalgoE9EiibEEZZNS1_14partition_implILS5_9ELb0ES3_jPKiN6thrust23THRUST_200600_302600_NS17counting_iteratorIiNSB_11use_defaultESD_SD_EEPNS0_10empty_typeENS0_5tupleIJPiSF_EEENSH_IJSI_SG_EEENS0_18inequality_wrapperIN6hipcub16HIPCUB_304000_NS8EqualityEEEPlJSF_EEE10hipError_tPvRmT3_T4_T5_T6_T7_T9_mT8_P12ihipStream_tbDpT10_ENKUlT_T0_E_clISt17integral_constantIbLb1EES1A_EEDaS15_S16_EUlS15_E_NS1_11comp_targetILNS1_3genE8ELNS1_11target_archE1030ELNS1_3gpuE2ELNS1_3repE0EEENS1_30default_config_static_selectorELNS0_4arch9wavefront6targetE1EEEvT1_
	.p2align	8
	.type	_ZN7rocprim17ROCPRIM_400000_NS6detail17trampoline_kernelINS0_14default_configENS1_25partition_config_selectorILNS1_17partition_subalgoE9EiibEEZZNS1_14partition_implILS5_9ELb0ES3_jPKiN6thrust23THRUST_200600_302600_NS17counting_iteratorIiNSB_11use_defaultESD_SD_EEPNS0_10empty_typeENS0_5tupleIJPiSF_EEENSH_IJSI_SG_EEENS0_18inequality_wrapperIN6hipcub16HIPCUB_304000_NS8EqualityEEEPlJSF_EEE10hipError_tPvRmT3_T4_T5_T6_T7_T9_mT8_P12ihipStream_tbDpT10_ENKUlT_T0_E_clISt17integral_constantIbLb1EES1A_EEDaS15_S16_EUlS15_E_NS1_11comp_targetILNS1_3genE8ELNS1_11target_archE1030ELNS1_3gpuE2ELNS1_3repE0EEENS1_30default_config_static_selectorELNS0_4arch9wavefront6targetE1EEEvT1_,@function
_ZN7rocprim17ROCPRIM_400000_NS6detail17trampoline_kernelINS0_14default_configENS1_25partition_config_selectorILNS1_17partition_subalgoE9EiibEEZZNS1_14partition_implILS5_9ELb0ES3_jPKiN6thrust23THRUST_200600_302600_NS17counting_iteratorIiNSB_11use_defaultESD_SD_EEPNS0_10empty_typeENS0_5tupleIJPiSF_EEENSH_IJSI_SG_EEENS0_18inequality_wrapperIN6hipcub16HIPCUB_304000_NS8EqualityEEEPlJSF_EEE10hipError_tPvRmT3_T4_T5_T6_T7_T9_mT8_P12ihipStream_tbDpT10_ENKUlT_T0_E_clISt17integral_constantIbLb1EES1A_EEDaS15_S16_EUlS15_E_NS1_11comp_targetILNS1_3genE8ELNS1_11target_archE1030ELNS1_3gpuE2ELNS1_3repE0EEENS1_30default_config_static_selectorELNS0_4arch9wavefront6targetE1EEEvT1_: ; @_ZN7rocprim17ROCPRIM_400000_NS6detail17trampoline_kernelINS0_14default_configENS1_25partition_config_selectorILNS1_17partition_subalgoE9EiibEEZZNS1_14partition_implILS5_9ELb0ES3_jPKiN6thrust23THRUST_200600_302600_NS17counting_iteratorIiNSB_11use_defaultESD_SD_EEPNS0_10empty_typeENS0_5tupleIJPiSF_EEENSH_IJSI_SG_EEENS0_18inequality_wrapperIN6hipcub16HIPCUB_304000_NS8EqualityEEEPlJSF_EEE10hipError_tPvRmT3_T4_T5_T6_T7_T9_mT8_P12ihipStream_tbDpT10_ENKUlT_T0_E_clISt17integral_constantIbLb1EES1A_EEDaS15_S16_EUlS15_E_NS1_11comp_targetILNS1_3genE8ELNS1_11target_archE1030ELNS1_3gpuE2ELNS1_3repE0EEENS1_30default_config_static_selectorELNS0_4arch9wavefront6targetE1EEEvT1_
; %bb.0:
	.section	.rodata,"a",@progbits
	.p2align	6, 0x0
	.amdhsa_kernel _ZN7rocprim17ROCPRIM_400000_NS6detail17trampoline_kernelINS0_14default_configENS1_25partition_config_selectorILNS1_17partition_subalgoE9EiibEEZZNS1_14partition_implILS5_9ELb0ES3_jPKiN6thrust23THRUST_200600_302600_NS17counting_iteratorIiNSB_11use_defaultESD_SD_EEPNS0_10empty_typeENS0_5tupleIJPiSF_EEENSH_IJSI_SG_EEENS0_18inequality_wrapperIN6hipcub16HIPCUB_304000_NS8EqualityEEEPlJSF_EEE10hipError_tPvRmT3_T4_T5_T6_T7_T9_mT8_P12ihipStream_tbDpT10_ENKUlT_T0_E_clISt17integral_constantIbLb1EES1A_EEDaS15_S16_EUlS15_E_NS1_11comp_targetILNS1_3genE8ELNS1_11target_archE1030ELNS1_3gpuE2ELNS1_3repE0EEENS1_30default_config_static_selectorELNS0_4arch9wavefront6targetE1EEEvT1_
		.amdhsa_group_segment_fixed_size 0
		.amdhsa_private_segment_fixed_size 0
		.amdhsa_kernarg_size 128
		.amdhsa_user_sgpr_count 2
		.amdhsa_user_sgpr_dispatch_ptr 0
		.amdhsa_user_sgpr_queue_ptr 0
		.amdhsa_user_sgpr_kernarg_segment_ptr 1
		.amdhsa_user_sgpr_dispatch_id 0
		.amdhsa_user_sgpr_kernarg_preload_length 0
		.amdhsa_user_sgpr_kernarg_preload_offset 0
		.amdhsa_user_sgpr_private_segment_size 0
		.amdhsa_uses_dynamic_stack 0
		.amdhsa_enable_private_segment 0
		.amdhsa_system_sgpr_workgroup_id_x 1
		.amdhsa_system_sgpr_workgroup_id_y 0
		.amdhsa_system_sgpr_workgroup_id_z 0
		.amdhsa_system_sgpr_workgroup_info 0
		.amdhsa_system_vgpr_workitem_id 0
		.amdhsa_next_free_vgpr 1
		.amdhsa_next_free_sgpr 0
		.amdhsa_accum_offset 4
		.amdhsa_reserve_vcc 0
		.amdhsa_float_round_mode_32 0
		.amdhsa_float_round_mode_16_64 0
		.amdhsa_float_denorm_mode_32 3
		.amdhsa_float_denorm_mode_16_64 3
		.amdhsa_dx10_clamp 1
		.amdhsa_ieee_mode 1
		.amdhsa_fp16_overflow 0
		.amdhsa_tg_split 0
		.amdhsa_exception_fp_ieee_invalid_op 0
		.amdhsa_exception_fp_denorm_src 0
		.amdhsa_exception_fp_ieee_div_zero 0
		.amdhsa_exception_fp_ieee_overflow 0
		.amdhsa_exception_fp_ieee_underflow 0
		.amdhsa_exception_fp_ieee_inexact 0
		.amdhsa_exception_int_div_zero 0
	.end_amdhsa_kernel
	.section	.text._ZN7rocprim17ROCPRIM_400000_NS6detail17trampoline_kernelINS0_14default_configENS1_25partition_config_selectorILNS1_17partition_subalgoE9EiibEEZZNS1_14partition_implILS5_9ELb0ES3_jPKiN6thrust23THRUST_200600_302600_NS17counting_iteratorIiNSB_11use_defaultESD_SD_EEPNS0_10empty_typeENS0_5tupleIJPiSF_EEENSH_IJSI_SG_EEENS0_18inequality_wrapperIN6hipcub16HIPCUB_304000_NS8EqualityEEEPlJSF_EEE10hipError_tPvRmT3_T4_T5_T6_T7_T9_mT8_P12ihipStream_tbDpT10_ENKUlT_T0_E_clISt17integral_constantIbLb1EES1A_EEDaS15_S16_EUlS15_E_NS1_11comp_targetILNS1_3genE8ELNS1_11target_archE1030ELNS1_3gpuE2ELNS1_3repE0EEENS1_30default_config_static_selectorELNS0_4arch9wavefront6targetE1EEEvT1_,"axG",@progbits,_ZN7rocprim17ROCPRIM_400000_NS6detail17trampoline_kernelINS0_14default_configENS1_25partition_config_selectorILNS1_17partition_subalgoE9EiibEEZZNS1_14partition_implILS5_9ELb0ES3_jPKiN6thrust23THRUST_200600_302600_NS17counting_iteratorIiNSB_11use_defaultESD_SD_EEPNS0_10empty_typeENS0_5tupleIJPiSF_EEENSH_IJSI_SG_EEENS0_18inequality_wrapperIN6hipcub16HIPCUB_304000_NS8EqualityEEEPlJSF_EEE10hipError_tPvRmT3_T4_T5_T6_T7_T9_mT8_P12ihipStream_tbDpT10_ENKUlT_T0_E_clISt17integral_constantIbLb1EES1A_EEDaS15_S16_EUlS15_E_NS1_11comp_targetILNS1_3genE8ELNS1_11target_archE1030ELNS1_3gpuE2ELNS1_3repE0EEENS1_30default_config_static_selectorELNS0_4arch9wavefront6targetE1EEEvT1_,comdat
.Lfunc_end25:
	.size	_ZN7rocprim17ROCPRIM_400000_NS6detail17trampoline_kernelINS0_14default_configENS1_25partition_config_selectorILNS1_17partition_subalgoE9EiibEEZZNS1_14partition_implILS5_9ELb0ES3_jPKiN6thrust23THRUST_200600_302600_NS17counting_iteratorIiNSB_11use_defaultESD_SD_EEPNS0_10empty_typeENS0_5tupleIJPiSF_EEENSH_IJSI_SG_EEENS0_18inequality_wrapperIN6hipcub16HIPCUB_304000_NS8EqualityEEEPlJSF_EEE10hipError_tPvRmT3_T4_T5_T6_T7_T9_mT8_P12ihipStream_tbDpT10_ENKUlT_T0_E_clISt17integral_constantIbLb1EES1A_EEDaS15_S16_EUlS15_E_NS1_11comp_targetILNS1_3genE8ELNS1_11target_archE1030ELNS1_3gpuE2ELNS1_3repE0EEENS1_30default_config_static_selectorELNS0_4arch9wavefront6targetE1EEEvT1_, .Lfunc_end25-_ZN7rocprim17ROCPRIM_400000_NS6detail17trampoline_kernelINS0_14default_configENS1_25partition_config_selectorILNS1_17partition_subalgoE9EiibEEZZNS1_14partition_implILS5_9ELb0ES3_jPKiN6thrust23THRUST_200600_302600_NS17counting_iteratorIiNSB_11use_defaultESD_SD_EEPNS0_10empty_typeENS0_5tupleIJPiSF_EEENSH_IJSI_SG_EEENS0_18inequality_wrapperIN6hipcub16HIPCUB_304000_NS8EqualityEEEPlJSF_EEE10hipError_tPvRmT3_T4_T5_T6_T7_T9_mT8_P12ihipStream_tbDpT10_ENKUlT_T0_E_clISt17integral_constantIbLb1EES1A_EEDaS15_S16_EUlS15_E_NS1_11comp_targetILNS1_3genE8ELNS1_11target_archE1030ELNS1_3gpuE2ELNS1_3repE0EEENS1_30default_config_static_selectorELNS0_4arch9wavefront6targetE1EEEvT1_
                                        ; -- End function
	.section	.AMDGPU.csdata,"",@progbits
; Kernel info:
; codeLenInByte = 0
; NumSgprs: 6
; NumVgprs: 0
; NumAgprs: 0
; TotalNumVgprs: 0
; ScratchSize: 0
; MemoryBound: 0
; FloatMode: 240
; IeeeMode: 1
; LDSByteSize: 0 bytes/workgroup (compile time only)
; SGPRBlocks: 0
; VGPRBlocks: 0
; NumSGPRsForWavesPerEU: 6
; NumVGPRsForWavesPerEU: 1
; AccumOffset: 4
; Occupancy: 8
; WaveLimiterHint : 0
; COMPUTE_PGM_RSRC2:SCRATCH_EN: 0
; COMPUTE_PGM_RSRC2:USER_SGPR: 2
; COMPUTE_PGM_RSRC2:TRAP_HANDLER: 0
; COMPUTE_PGM_RSRC2:TGID_X_EN: 1
; COMPUTE_PGM_RSRC2:TGID_Y_EN: 0
; COMPUTE_PGM_RSRC2:TGID_Z_EN: 0
; COMPUTE_PGM_RSRC2:TIDIG_COMP_CNT: 0
; COMPUTE_PGM_RSRC3_GFX90A:ACCUM_OFFSET: 0
; COMPUTE_PGM_RSRC3_GFX90A:TG_SPLIT: 0
	.section	.text._ZN7rocprim17ROCPRIM_400000_NS6detail31init_lookback_scan_state_kernelINS1_19lookback_scan_stateIjLb1ELb1EEENS1_16block_id_wrapperIjLb0EEEEEvT_jT0_jPNS7_10value_typeE,"axG",@progbits,_ZN7rocprim17ROCPRIM_400000_NS6detail31init_lookback_scan_state_kernelINS1_19lookback_scan_stateIjLb1ELb1EEENS1_16block_id_wrapperIjLb0EEEEEvT_jT0_jPNS7_10value_typeE,comdat
	.protected	_ZN7rocprim17ROCPRIM_400000_NS6detail31init_lookback_scan_state_kernelINS1_19lookback_scan_stateIjLb1ELb1EEENS1_16block_id_wrapperIjLb0EEEEEvT_jT0_jPNS7_10value_typeE ; -- Begin function _ZN7rocprim17ROCPRIM_400000_NS6detail31init_lookback_scan_state_kernelINS1_19lookback_scan_stateIjLb1ELb1EEENS1_16block_id_wrapperIjLb0EEEEEvT_jT0_jPNS7_10value_typeE
	.globl	_ZN7rocprim17ROCPRIM_400000_NS6detail31init_lookback_scan_state_kernelINS1_19lookback_scan_stateIjLb1ELb1EEENS1_16block_id_wrapperIjLb0EEEEEvT_jT0_jPNS7_10value_typeE
	.p2align	8
	.type	_ZN7rocprim17ROCPRIM_400000_NS6detail31init_lookback_scan_state_kernelINS1_19lookback_scan_stateIjLb1ELb1EEENS1_16block_id_wrapperIjLb0EEEEEvT_jT0_jPNS7_10value_typeE,@function
_ZN7rocprim17ROCPRIM_400000_NS6detail31init_lookback_scan_state_kernelINS1_19lookback_scan_stateIjLb1ELb1EEENS1_16block_id_wrapperIjLb0EEEEEvT_jT0_jPNS7_10value_typeE: ; @_ZN7rocprim17ROCPRIM_400000_NS6detail31init_lookback_scan_state_kernelINS1_19lookback_scan_stateIjLb1ELb1EEENS1_16block_id_wrapperIjLb0EEEEEvT_jT0_jPNS7_10value_typeE
; %bb.0:
	s_load_dword s3, s[0:1], 0x2c
	s_load_dwordx2 s[6:7], s[0:1], 0x18
	s_load_dwordx2 s[4:5], s[0:1], 0x0
	s_load_dword s8, s[0:1], 0x8
	s_waitcnt lgkmcnt(0)
	s_and_b32 s3, s3, 0xffff
	s_mul_i32 s2, s2, s3
	s_cmp_eq_u64 s[6:7], 0
	v_add_u32_e32 v0, s2, v0
	s_cbranch_scc1 .LBB26_9
; %bb.1:
	s_load_dword s2, s[0:1], 0x10
	s_mov_b32 s3, 0
	s_waitcnt lgkmcnt(0)
	s_cmp_lt_u32 s2, s8
	s_cselect_b32 s0, s2, 0
	v_cmp_eq_u32_e32 vcc, s0, v0
	s_and_saveexec_b64 s[0:1], vcc
	s_cbranch_execz .LBB26_8
; %bb.2:
	s_add_i32 s2, s2, 64
	s_lshl_b64 s[2:3], s[2:3], 3
	s_add_u32 s2, s4, s2
	s_addc_u32 s3, s5, s3
	v_mov_b32_e32 v2, 0
	global_load_dwordx2 v[4:5], v2, s[2:3] sc1
	s_waitcnt vmcnt(0)
	v_and_b32_e32 v3, 0xff, v5
	v_cmp_ne_u64_e32 vcc, 0, v[2:3]
	s_cbranch_vccnz .LBB26_7
; %bb.3:
	s_mov_b32 s9, 1
.LBB26_4:                               ; =>This Loop Header: Depth=1
                                        ;     Child Loop BB26_5 Depth 2
	s_max_u32 s10, s9, 1
.LBB26_5:                               ;   Parent Loop BB26_4 Depth=1
                                        ; =>  This Inner Loop Header: Depth=2
	s_add_i32 s10, s10, -1
	s_cmp_eq_u32 s10, 0
	s_sleep 1
	s_cbranch_scc0 .LBB26_5
; %bb.6:                                ;   in Loop: Header=BB26_4 Depth=1
	global_load_dwordx2 v[4:5], v2, s[2:3] sc1
	s_cmp_lt_u32 s9, 32
	s_cselect_b64 s[10:11], -1, 0
	s_cmp_lg_u64 s[10:11], 0
	s_addc_u32 s9, s9, 0
	s_waitcnt vmcnt(0)
	v_and_b32_e32 v3, 0xff, v5
	v_cmp_ne_u64_e32 vcc, 0, v[2:3]
	s_cbranch_vccz .LBB26_4
.LBB26_7:
	v_mov_b32_e32 v1, 0
	global_store_dword v1, v4, s[6:7]
.LBB26_8:
	s_or_b64 exec, exec, s[0:1]
.LBB26_9:
	v_cmp_gt_u32_e32 vcc, s8, v0
	s_and_saveexec_b64 s[0:1], vcc
	s_cbranch_execnz .LBB26_12
; %bb.10:
	s_or_b64 exec, exec, s[0:1]
	v_cmp_gt_u32_e32 vcc, 64, v0
	s_and_saveexec_b64 s[0:1], vcc
	s_cbranch_execnz .LBB26_13
.LBB26_11:
	s_endpgm
.LBB26_12:
	v_add_u32_e32 v2, 64, v0
	v_mov_b32_e32 v3, 0
	v_lshl_add_u64 v[4:5], v[2:3], 3, s[4:5]
	v_mov_b32_e32 v2, v3
	global_store_dwordx2 v[4:5], v[2:3], off
	s_or_b64 exec, exec, s[0:1]
	v_cmp_gt_u32_e32 vcc, 64, v0
	s_and_saveexec_b64 s[0:1], vcc
	s_cbranch_execz .LBB26_11
.LBB26_13:
	v_mov_b32_e32 v1, 0
	v_lshl_add_u64 v[2:3], v[0:1], 3, s[4:5]
	v_mov_b32_e32 v5, 0xff
	v_mov_b32_e32 v4, v1
	global_store_dwordx2 v[2:3], v[4:5], off
	s_endpgm
	.section	.rodata,"a",@progbits
	.p2align	6, 0x0
	.amdhsa_kernel _ZN7rocprim17ROCPRIM_400000_NS6detail31init_lookback_scan_state_kernelINS1_19lookback_scan_stateIjLb1ELb1EEENS1_16block_id_wrapperIjLb0EEEEEvT_jT0_jPNS7_10value_typeE
		.amdhsa_group_segment_fixed_size 0
		.amdhsa_private_segment_fixed_size 0
		.amdhsa_kernarg_size 288
		.amdhsa_user_sgpr_count 2
		.amdhsa_user_sgpr_dispatch_ptr 0
		.amdhsa_user_sgpr_queue_ptr 0
		.amdhsa_user_sgpr_kernarg_segment_ptr 1
		.amdhsa_user_sgpr_dispatch_id 0
		.amdhsa_user_sgpr_kernarg_preload_length 0
		.amdhsa_user_sgpr_kernarg_preload_offset 0
		.amdhsa_user_sgpr_private_segment_size 0
		.amdhsa_uses_dynamic_stack 0
		.amdhsa_enable_private_segment 0
		.amdhsa_system_sgpr_workgroup_id_x 1
		.amdhsa_system_sgpr_workgroup_id_y 0
		.amdhsa_system_sgpr_workgroup_id_z 0
		.amdhsa_system_sgpr_workgroup_info 0
		.amdhsa_system_vgpr_workitem_id 0
		.amdhsa_next_free_vgpr 6
		.amdhsa_next_free_sgpr 12
		.amdhsa_accum_offset 8
		.amdhsa_reserve_vcc 1
		.amdhsa_float_round_mode_32 0
		.amdhsa_float_round_mode_16_64 0
		.amdhsa_float_denorm_mode_32 3
		.amdhsa_float_denorm_mode_16_64 3
		.amdhsa_dx10_clamp 1
		.amdhsa_ieee_mode 1
		.amdhsa_fp16_overflow 0
		.amdhsa_tg_split 0
		.amdhsa_exception_fp_ieee_invalid_op 0
		.amdhsa_exception_fp_denorm_src 0
		.amdhsa_exception_fp_ieee_div_zero 0
		.amdhsa_exception_fp_ieee_overflow 0
		.amdhsa_exception_fp_ieee_underflow 0
		.amdhsa_exception_fp_ieee_inexact 0
		.amdhsa_exception_int_div_zero 0
	.end_amdhsa_kernel
	.section	.text._ZN7rocprim17ROCPRIM_400000_NS6detail31init_lookback_scan_state_kernelINS1_19lookback_scan_stateIjLb1ELb1EEENS1_16block_id_wrapperIjLb0EEEEEvT_jT0_jPNS7_10value_typeE,"axG",@progbits,_ZN7rocprim17ROCPRIM_400000_NS6detail31init_lookback_scan_state_kernelINS1_19lookback_scan_stateIjLb1ELb1EEENS1_16block_id_wrapperIjLb0EEEEEvT_jT0_jPNS7_10value_typeE,comdat
.Lfunc_end26:
	.size	_ZN7rocprim17ROCPRIM_400000_NS6detail31init_lookback_scan_state_kernelINS1_19lookback_scan_stateIjLb1ELb1EEENS1_16block_id_wrapperIjLb0EEEEEvT_jT0_jPNS7_10value_typeE, .Lfunc_end26-_ZN7rocprim17ROCPRIM_400000_NS6detail31init_lookback_scan_state_kernelINS1_19lookback_scan_stateIjLb1ELb1EEENS1_16block_id_wrapperIjLb0EEEEEvT_jT0_jPNS7_10value_typeE
                                        ; -- End function
	.section	.AMDGPU.csdata,"",@progbits
; Kernel info:
; codeLenInByte = 340
; NumSgprs: 18
; NumVgprs: 6
; NumAgprs: 0
; TotalNumVgprs: 6
; ScratchSize: 0
; MemoryBound: 0
; FloatMode: 240
; IeeeMode: 1
; LDSByteSize: 0 bytes/workgroup (compile time only)
; SGPRBlocks: 2
; VGPRBlocks: 0
; NumSGPRsForWavesPerEU: 18
; NumVGPRsForWavesPerEU: 6
; AccumOffset: 8
; Occupancy: 8
; WaveLimiterHint : 0
; COMPUTE_PGM_RSRC2:SCRATCH_EN: 0
; COMPUTE_PGM_RSRC2:USER_SGPR: 2
; COMPUTE_PGM_RSRC2:TRAP_HANDLER: 0
; COMPUTE_PGM_RSRC2:TGID_X_EN: 1
; COMPUTE_PGM_RSRC2:TGID_Y_EN: 0
; COMPUTE_PGM_RSRC2:TGID_Z_EN: 0
; COMPUTE_PGM_RSRC2:TIDIG_COMP_CNT: 0
; COMPUTE_PGM_RSRC3_GFX90A:ACCUM_OFFSET: 1
; COMPUTE_PGM_RSRC3_GFX90A:TG_SPLIT: 0
	.section	.text._ZN7rocprim17ROCPRIM_400000_NS6detail17trampoline_kernelINS0_14default_configENS1_25partition_config_selectorILNS1_17partition_subalgoE9EiibEEZZNS1_14partition_implILS5_9ELb0ES3_jPKiN6thrust23THRUST_200600_302600_NS17counting_iteratorIiNSB_11use_defaultESD_SD_EEPNS0_10empty_typeENS0_5tupleIJPiSF_EEENSH_IJSI_SG_EEENS0_18inequality_wrapperIN6hipcub16HIPCUB_304000_NS8EqualityEEEPlJSF_EEE10hipError_tPvRmT3_T4_T5_T6_T7_T9_mT8_P12ihipStream_tbDpT10_ENKUlT_T0_E_clISt17integral_constantIbLb1EES19_IbLb0EEEEDaS15_S16_EUlS15_E_NS1_11comp_targetILNS1_3genE0ELNS1_11target_archE4294967295ELNS1_3gpuE0ELNS1_3repE0EEENS1_30default_config_static_selectorELNS0_4arch9wavefront6targetE1EEEvT1_,"axG",@progbits,_ZN7rocprim17ROCPRIM_400000_NS6detail17trampoline_kernelINS0_14default_configENS1_25partition_config_selectorILNS1_17partition_subalgoE9EiibEEZZNS1_14partition_implILS5_9ELb0ES3_jPKiN6thrust23THRUST_200600_302600_NS17counting_iteratorIiNSB_11use_defaultESD_SD_EEPNS0_10empty_typeENS0_5tupleIJPiSF_EEENSH_IJSI_SG_EEENS0_18inequality_wrapperIN6hipcub16HIPCUB_304000_NS8EqualityEEEPlJSF_EEE10hipError_tPvRmT3_T4_T5_T6_T7_T9_mT8_P12ihipStream_tbDpT10_ENKUlT_T0_E_clISt17integral_constantIbLb1EES19_IbLb0EEEEDaS15_S16_EUlS15_E_NS1_11comp_targetILNS1_3genE0ELNS1_11target_archE4294967295ELNS1_3gpuE0ELNS1_3repE0EEENS1_30default_config_static_selectorELNS0_4arch9wavefront6targetE1EEEvT1_,comdat
	.protected	_ZN7rocprim17ROCPRIM_400000_NS6detail17trampoline_kernelINS0_14default_configENS1_25partition_config_selectorILNS1_17partition_subalgoE9EiibEEZZNS1_14partition_implILS5_9ELb0ES3_jPKiN6thrust23THRUST_200600_302600_NS17counting_iteratorIiNSB_11use_defaultESD_SD_EEPNS0_10empty_typeENS0_5tupleIJPiSF_EEENSH_IJSI_SG_EEENS0_18inequality_wrapperIN6hipcub16HIPCUB_304000_NS8EqualityEEEPlJSF_EEE10hipError_tPvRmT3_T4_T5_T6_T7_T9_mT8_P12ihipStream_tbDpT10_ENKUlT_T0_E_clISt17integral_constantIbLb1EES19_IbLb0EEEEDaS15_S16_EUlS15_E_NS1_11comp_targetILNS1_3genE0ELNS1_11target_archE4294967295ELNS1_3gpuE0ELNS1_3repE0EEENS1_30default_config_static_selectorELNS0_4arch9wavefront6targetE1EEEvT1_ ; -- Begin function _ZN7rocprim17ROCPRIM_400000_NS6detail17trampoline_kernelINS0_14default_configENS1_25partition_config_selectorILNS1_17partition_subalgoE9EiibEEZZNS1_14partition_implILS5_9ELb0ES3_jPKiN6thrust23THRUST_200600_302600_NS17counting_iteratorIiNSB_11use_defaultESD_SD_EEPNS0_10empty_typeENS0_5tupleIJPiSF_EEENSH_IJSI_SG_EEENS0_18inequality_wrapperIN6hipcub16HIPCUB_304000_NS8EqualityEEEPlJSF_EEE10hipError_tPvRmT3_T4_T5_T6_T7_T9_mT8_P12ihipStream_tbDpT10_ENKUlT_T0_E_clISt17integral_constantIbLb1EES19_IbLb0EEEEDaS15_S16_EUlS15_E_NS1_11comp_targetILNS1_3genE0ELNS1_11target_archE4294967295ELNS1_3gpuE0ELNS1_3repE0EEENS1_30default_config_static_selectorELNS0_4arch9wavefront6targetE1EEEvT1_
	.globl	_ZN7rocprim17ROCPRIM_400000_NS6detail17trampoline_kernelINS0_14default_configENS1_25partition_config_selectorILNS1_17partition_subalgoE9EiibEEZZNS1_14partition_implILS5_9ELb0ES3_jPKiN6thrust23THRUST_200600_302600_NS17counting_iteratorIiNSB_11use_defaultESD_SD_EEPNS0_10empty_typeENS0_5tupleIJPiSF_EEENSH_IJSI_SG_EEENS0_18inequality_wrapperIN6hipcub16HIPCUB_304000_NS8EqualityEEEPlJSF_EEE10hipError_tPvRmT3_T4_T5_T6_T7_T9_mT8_P12ihipStream_tbDpT10_ENKUlT_T0_E_clISt17integral_constantIbLb1EES19_IbLb0EEEEDaS15_S16_EUlS15_E_NS1_11comp_targetILNS1_3genE0ELNS1_11target_archE4294967295ELNS1_3gpuE0ELNS1_3repE0EEENS1_30default_config_static_selectorELNS0_4arch9wavefront6targetE1EEEvT1_
	.p2align	8
	.type	_ZN7rocprim17ROCPRIM_400000_NS6detail17trampoline_kernelINS0_14default_configENS1_25partition_config_selectorILNS1_17partition_subalgoE9EiibEEZZNS1_14partition_implILS5_9ELb0ES3_jPKiN6thrust23THRUST_200600_302600_NS17counting_iteratorIiNSB_11use_defaultESD_SD_EEPNS0_10empty_typeENS0_5tupleIJPiSF_EEENSH_IJSI_SG_EEENS0_18inequality_wrapperIN6hipcub16HIPCUB_304000_NS8EqualityEEEPlJSF_EEE10hipError_tPvRmT3_T4_T5_T6_T7_T9_mT8_P12ihipStream_tbDpT10_ENKUlT_T0_E_clISt17integral_constantIbLb1EES19_IbLb0EEEEDaS15_S16_EUlS15_E_NS1_11comp_targetILNS1_3genE0ELNS1_11target_archE4294967295ELNS1_3gpuE0ELNS1_3repE0EEENS1_30default_config_static_selectorELNS0_4arch9wavefront6targetE1EEEvT1_,@function
_ZN7rocprim17ROCPRIM_400000_NS6detail17trampoline_kernelINS0_14default_configENS1_25partition_config_selectorILNS1_17partition_subalgoE9EiibEEZZNS1_14partition_implILS5_9ELb0ES3_jPKiN6thrust23THRUST_200600_302600_NS17counting_iteratorIiNSB_11use_defaultESD_SD_EEPNS0_10empty_typeENS0_5tupleIJPiSF_EEENSH_IJSI_SG_EEENS0_18inequality_wrapperIN6hipcub16HIPCUB_304000_NS8EqualityEEEPlJSF_EEE10hipError_tPvRmT3_T4_T5_T6_T7_T9_mT8_P12ihipStream_tbDpT10_ENKUlT_T0_E_clISt17integral_constantIbLb1EES19_IbLb0EEEEDaS15_S16_EUlS15_E_NS1_11comp_targetILNS1_3genE0ELNS1_11target_archE4294967295ELNS1_3gpuE0ELNS1_3repE0EEENS1_30default_config_static_selectorELNS0_4arch9wavefront6targetE1EEEvT1_: ; @_ZN7rocprim17ROCPRIM_400000_NS6detail17trampoline_kernelINS0_14default_configENS1_25partition_config_selectorILNS1_17partition_subalgoE9EiibEEZZNS1_14partition_implILS5_9ELb0ES3_jPKiN6thrust23THRUST_200600_302600_NS17counting_iteratorIiNSB_11use_defaultESD_SD_EEPNS0_10empty_typeENS0_5tupleIJPiSF_EEENSH_IJSI_SG_EEENS0_18inequality_wrapperIN6hipcub16HIPCUB_304000_NS8EqualityEEEPlJSF_EEE10hipError_tPvRmT3_T4_T5_T6_T7_T9_mT8_P12ihipStream_tbDpT10_ENKUlT_T0_E_clISt17integral_constantIbLb1EES19_IbLb0EEEEDaS15_S16_EUlS15_E_NS1_11comp_targetILNS1_3genE0ELNS1_11target_archE4294967295ELNS1_3gpuE0ELNS1_3repE0EEENS1_30default_config_static_selectorELNS0_4arch9wavefront6targetE1EEEvT1_
; %bb.0:
	.section	.rodata,"a",@progbits
	.p2align	6, 0x0
	.amdhsa_kernel _ZN7rocprim17ROCPRIM_400000_NS6detail17trampoline_kernelINS0_14default_configENS1_25partition_config_selectorILNS1_17partition_subalgoE9EiibEEZZNS1_14partition_implILS5_9ELb0ES3_jPKiN6thrust23THRUST_200600_302600_NS17counting_iteratorIiNSB_11use_defaultESD_SD_EEPNS0_10empty_typeENS0_5tupleIJPiSF_EEENSH_IJSI_SG_EEENS0_18inequality_wrapperIN6hipcub16HIPCUB_304000_NS8EqualityEEEPlJSF_EEE10hipError_tPvRmT3_T4_T5_T6_T7_T9_mT8_P12ihipStream_tbDpT10_ENKUlT_T0_E_clISt17integral_constantIbLb1EES19_IbLb0EEEEDaS15_S16_EUlS15_E_NS1_11comp_targetILNS1_3genE0ELNS1_11target_archE4294967295ELNS1_3gpuE0ELNS1_3repE0EEENS1_30default_config_static_selectorELNS0_4arch9wavefront6targetE1EEEvT1_
		.amdhsa_group_segment_fixed_size 0
		.amdhsa_private_segment_fixed_size 0
		.amdhsa_kernarg_size 112
		.amdhsa_user_sgpr_count 2
		.amdhsa_user_sgpr_dispatch_ptr 0
		.amdhsa_user_sgpr_queue_ptr 0
		.amdhsa_user_sgpr_kernarg_segment_ptr 1
		.amdhsa_user_sgpr_dispatch_id 0
		.amdhsa_user_sgpr_kernarg_preload_length 0
		.amdhsa_user_sgpr_kernarg_preload_offset 0
		.amdhsa_user_sgpr_private_segment_size 0
		.amdhsa_uses_dynamic_stack 0
		.amdhsa_enable_private_segment 0
		.amdhsa_system_sgpr_workgroup_id_x 1
		.amdhsa_system_sgpr_workgroup_id_y 0
		.amdhsa_system_sgpr_workgroup_id_z 0
		.amdhsa_system_sgpr_workgroup_info 0
		.amdhsa_system_vgpr_workitem_id 0
		.amdhsa_next_free_vgpr 1
		.amdhsa_next_free_sgpr 0
		.amdhsa_accum_offset 4
		.amdhsa_reserve_vcc 0
		.amdhsa_float_round_mode_32 0
		.amdhsa_float_round_mode_16_64 0
		.amdhsa_float_denorm_mode_32 3
		.amdhsa_float_denorm_mode_16_64 3
		.amdhsa_dx10_clamp 1
		.amdhsa_ieee_mode 1
		.amdhsa_fp16_overflow 0
		.amdhsa_tg_split 0
		.amdhsa_exception_fp_ieee_invalid_op 0
		.amdhsa_exception_fp_denorm_src 0
		.amdhsa_exception_fp_ieee_div_zero 0
		.amdhsa_exception_fp_ieee_overflow 0
		.amdhsa_exception_fp_ieee_underflow 0
		.amdhsa_exception_fp_ieee_inexact 0
		.amdhsa_exception_int_div_zero 0
	.end_amdhsa_kernel
	.section	.text._ZN7rocprim17ROCPRIM_400000_NS6detail17trampoline_kernelINS0_14default_configENS1_25partition_config_selectorILNS1_17partition_subalgoE9EiibEEZZNS1_14partition_implILS5_9ELb0ES3_jPKiN6thrust23THRUST_200600_302600_NS17counting_iteratorIiNSB_11use_defaultESD_SD_EEPNS0_10empty_typeENS0_5tupleIJPiSF_EEENSH_IJSI_SG_EEENS0_18inequality_wrapperIN6hipcub16HIPCUB_304000_NS8EqualityEEEPlJSF_EEE10hipError_tPvRmT3_T4_T5_T6_T7_T9_mT8_P12ihipStream_tbDpT10_ENKUlT_T0_E_clISt17integral_constantIbLb1EES19_IbLb0EEEEDaS15_S16_EUlS15_E_NS1_11comp_targetILNS1_3genE0ELNS1_11target_archE4294967295ELNS1_3gpuE0ELNS1_3repE0EEENS1_30default_config_static_selectorELNS0_4arch9wavefront6targetE1EEEvT1_,"axG",@progbits,_ZN7rocprim17ROCPRIM_400000_NS6detail17trampoline_kernelINS0_14default_configENS1_25partition_config_selectorILNS1_17partition_subalgoE9EiibEEZZNS1_14partition_implILS5_9ELb0ES3_jPKiN6thrust23THRUST_200600_302600_NS17counting_iteratorIiNSB_11use_defaultESD_SD_EEPNS0_10empty_typeENS0_5tupleIJPiSF_EEENSH_IJSI_SG_EEENS0_18inequality_wrapperIN6hipcub16HIPCUB_304000_NS8EqualityEEEPlJSF_EEE10hipError_tPvRmT3_T4_T5_T6_T7_T9_mT8_P12ihipStream_tbDpT10_ENKUlT_T0_E_clISt17integral_constantIbLb1EES19_IbLb0EEEEDaS15_S16_EUlS15_E_NS1_11comp_targetILNS1_3genE0ELNS1_11target_archE4294967295ELNS1_3gpuE0ELNS1_3repE0EEENS1_30default_config_static_selectorELNS0_4arch9wavefront6targetE1EEEvT1_,comdat
.Lfunc_end27:
	.size	_ZN7rocprim17ROCPRIM_400000_NS6detail17trampoline_kernelINS0_14default_configENS1_25partition_config_selectorILNS1_17partition_subalgoE9EiibEEZZNS1_14partition_implILS5_9ELb0ES3_jPKiN6thrust23THRUST_200600_302600_NS17counting_iteratorIiNSB_11use_defaultESD_SD_EEPNS0_10empty_typeENS0_5tupleIJPiSF_EEENSH_IJSI_SG_EEENS0_18inequality_wrapperIN6hipcub16HIPCUB_304000_NS8EqualityEEEPlJSF_EEE10hipError_tPvRmT3_T4_T5_T6_T7_T9_mT8_P12ihipStream_tbDpT10_ENKUlT_T0_E_clISt17integral_constantIbLb1EES19_IbLb0EEEEDaS15_S16_EUlS15_E_NS1_11comp_targetILNS1_3genE0ELNS1_11target_archE4294967295ELNS1_3gpuE0ELNS1_3repE0EEENS1_30default_config_static_selectorELNS0_4arch9wavefront6targetE1EEEvT1_, .Lfunc_end27-_ZN7rocprim17ROCPRIM_400000_NS6detail17trampoline_kernelINS0_14default_configENS1_25partition_config_selectorILNS1_17partition_subalgoE9EiibEEZZNS1_14partition_implILS5_9ELb0ES3_jPKiN6thrust23THRUST_200600_302600_NS17counting_iteratorIiNSB_11use_defaultESD_SD_EEPNS0_10empty_typeENS0_5tupleIJPiSF_EEENSH_IJSI_SG_EEENS0_18inequality_wrapperIN6hipcub16HIPCUB_304000_NS8EqualityEEEPlJSF_EEE10hipError_tPvRmT3_T4_T5_T6_T7_T9_mT8_P12ihipStream_tbDpT10_ENKUlT_T0_E_clISt17integral_constantIbLb1EES19_IbLb0EEEEDaS15_S16_EUlS15_E_NS1_11comp_targetILNS1_3genE0ELNS1_11target_archE4294967295ELNS1_3gpuE0ELNS1_3repE0EEENS1_30default_config_static_selectorELNS0_4arch9wavefront6targetE1EEEvT1_
                                        ; -- End function
	.section	.AMDGPU.csdata,"",@progbits
; Kernel info:
; codeLenInByte = 0
; NumSgprs: 6
; NumVgprs: 0
; NumAgprs: 0
; TotalNumVgprs: 0
; ScratchSize: 0
; MemoryBound: 0
; FloatMode: 240
; IeeeMode: 1
; LDSByteSize: 0 bytes/workgroup (compile time only)
; SGPRBlocks: 0
; VGPRBlocks: 0
; NumSGPRsForWavesPerEU: 6
; NumVGPRsForWavesPerEU: 1
; AccumOffset: 4
; Occupancy: 8
; WaveLimiterHint : 0
; COMPUTE_PGM_RSRC2:SCRATCH_EN: 0
; COMPUTE_PGM_RSRC2:USER_SGPR: 2
; COMPUTE_PGM_RSRC2:TRAP_HANDLER: 0
; COMPUTE_PGM_RSRC2:TGID_X_EN: 1
; COMPUTE_PGM_RSRC2:TGID_Y_EN: 0
; COMPUTE_PGM_RSRC2:TGID_Z_EN: 0
; COMPUTE_PGM_RSRC2:TIDIG_COMP_CNT: 0
; COMPUTE_PGM_RSRC3_GFX90A:ACCUM_OFFSET: 0
; COMPUTE_PGM_RSRC3_GFX90A:TG_SPLIT: 0
	.section	.text._ZN7rocprim17ROCPRIM_400000_NS6detail17trampoline_kernelINS0_14default_configENS1_25partition_config_selectorILNS1_17partition_subalgoE9EiibEEZZNS1_14partition_implILS5_9ELb0ES3_jPKiN6thrust23THRUST_200600_302600_NS17counting_iteratorIiNSB_11use_defaultESD_SD_EEPNS0_10empty_typeENS0_5tupleIJPiSF_EEENSH_IJSI_SG_EEENS0_18inequality_wrapperIN6hipcub16HIPCUB_304000_NS8EqualityEEEPlJSF_EEE10hipError_tPvRmT3_T4_T5_T6_T7_T9_mT8_P12ihipStream_tbDpT10_ENKUlT_T0_E_clISt17integral_constantIbLb1EES19_IbLb0EEEEDaS15_S16_EUlS15_E_NS1_11comp_targetILNS1_3genE5ELNS1_11target_archE942ELNS1_3gpuE9ELNS1_3repE0EEENS1_30default_config_static_selectorELNS0_4arch9wavefront6targetE1EEEvT1_,"axG",@progbits,_ZN7rocprim17ROCPRIM_400000_NS6detail17trampoline_kernelINS0_14default_configENS1_25partition_config_selectorILNS1_17partition_subalgoE9EiibEEZZNS1_14partition_implILS5_9ELb0ES3_jPKiN6thrust23THRUST_200600_302600_NS17counting_iteratorIiNSB_11use_defaultESD_SD_EEPNS0_10empty_typeENS0_5tupleIJPiSF_EEENSH_IJSI_SG_EEENS0_18inequality_wrapperIN6hipcub16HIPCUB_304000_NS8EqualityEEEPlJSF_EEE10hipError_tPvRmT3_T4_T5_T6_T7_T9_mT8_P12ihipStream_tbDpT10_ENKUlT_T0_E_clISt17integral_constantIbLb1EES19_IbLb0EEEEDaS15_S16_EUlS15_E_NS1_11comp_targetILNS1_3genE5ELNS1_11target_archE942ELNS1_3gpuE9ELNS1_3repE0EEENS1_30default_config_static_selectorELNS0_4arch9wavefront6targetE1EEEvT1_,comdat
	.protected	_ZN7rocprim17ROCPRIM_400000_NS6detail17trampoline_kernelINS0_14default_configENS1_25partition_config_selectorILNS1_17partition_subalgoE9EiibEEZZNS1_14partition_implILS5_9ELb0ES3_jPKiN6thrust23THRUST_200600_302600_NS17counting_iteratorIiNSB_11use_defaultESD_SD_EEPNS0_10empty_typeENS0_5tupleIJPiSF_EEENSH_IJSI_SG_EEENS0_18inequality_wrapperIN6hipcub16HIPCUB_304000_NS8EqualityEEEPlJSF_EEE10hipError_tPvRmT3_T4_T5_T6_T7_T9_mT8_P12ihipStream_tbDpT10_ENKUlT_T0_E_clISt17integral_constantIbLb1EES19_IbLb0EEEEDaS15_S16_EUlS15_E_NS1_11comp_targetILNS1_3genE5ELNS1_11target_archE942ELNS1_3gpuE9ELNS1_3repE0EEENS1_30default_config_static_selectorELNS0_4arch9wavefront6targetE1EEEvT1_ ; -- Begin function _ZN7rocprim17ROCPRIM_400000_NS6detail17trampoline_kernelINS0_14default_configENS1_25partition_config_selectorILNS1_17partition_subalgoE9EiibEEZZNS1_14partition_implILS5_9ELb0ES3_jPKiN6thrust23THRUST_200600_302600_NS17counting_iteratorIiNSB_11use_defaultESD_SD_EEPNS0_10empty_typeENS0_5tupleIJPiSF_EEENSH_IJSI_SG_EEENS0_18inequality_wrapperIN6hipcub16HIPCUB_304000_NS8EqualityEEEPlJSF_EEE10hipError_tPvRmT3_T4_T5_T6_T7_T9_mT8_P12ihipStream_tbDpT10_ENKUlT_T0_E_clISt17integral_constantIbLb1EES19_IbLb0EEEEDaS15_S16_EUlS15_E_NS1_11comp_targetILNS1_3genE5ELNS1_11target_archE942ELNS1_3gpuE9ELNS1_3repE0EEENS1_30default_config_static_selectorELNS0_4arch9wavefront6targetE1EEEvT1_
	.globl	_ZN7rocprim17ROCPRIM_400000_NS6detail17trampoline_kernelINS0_14default_configENS1_25partition_config_selectorILNS1_17partition_subalgoE9EiibEEZZNS1_14partition_implILS5_9ELb0ES3_jPKiN6thrust23THRUST_200600_302600_NS17counting_iteratorIiNSB_11use_defaultESD_SD_EEPNS0_10empty_typeENS0_5tupleIJPiSF_EEENSH_IJSI_SG_EEENS0_18inequality_wrapperIN6hipcub16HIPCUB_304000_NS8EqualityEEEPlJSF_EEE10hipError_tPvRmT3_T4_T5_T6_T7_T9_mT8_P12ihipStream_tbDpT10_ENKUlT_T0_E_clISt17integral_constantIbLb1EES19_IbLb0EEEEDaS15_S16_EUlS15_E_NS1_11comp_targetILNS1_3genE5ELNS1_11target_archE942ELNS1_3gpuE9ELNS1_3repE0EEENS1_30default_config_static_selectorELNS0_4arch9wavefront6targetE1EEEvT1_
	.p2align	8
	.type	_ZN7rocprim17ROCPRIM_400000_NS6detail17trampoline_kernelINS0_14default_configENS1_25partition_config_selectorILNS1_17partition_subalgoE9EiibEEZZNS1_14partition_implILS5_9ELb0ES3_jPKiN6thrust23THRUST_200600_302600_NS17counting_iteratorIiNSB_11use_defaultESD_SD_EEPNS0_10empty_typeENS0_5tupleIJPiSF_EEENSH_IJSI_SG_EEENS0_18inequality_wrapperIN6hipcub16HIPCUB_304000_NS8EqualityEEEPlJSF_EEE10hipError_tPvRmT3_T4_T5_T6_T7_T9_mT8_P12ihipStream_tbDpT10_ENKUlT_T0_E_clISt17integral_constantIbLb1EES19_IbLb0EEEEDaS15_S16_EUlS15_E_NS1_11comp_targetILNS1_3genE5ELNS1_11target_archE942ELNS1_3gpuE9ELNS1_3repE0EEENS1_30default_config_static_selectorELNS0_4arch9wavefront6targetE1EEEvT1_,@function
_ZN7rocprim17ROCPRIM_400000_NS6detail17trampoline_kernelINS0_14default_configENS1_25partition_config_selectorILNS1_17partition_subalgoE9EiibEEZZNS1_14partition_implILS5_9ELb0ES3_jPKiN6thrust23THRUST_200600_302600_NS17counting_iteratorIiNSB_11use_defaultESD_SD_EEPNS0_10empty_typeENS0_5tupleIJPiSF_EEENSH_IJSI_SG_EEENS0_18inequality_wrapperIN6hipcub16HIPCUB_304000_NS8EqualityEEEPlJSF_EEE10hipError_tPvRmT3_T4_T5_T6_T7_T9_mT8_P12ihipStream_tbDpT10_ENKUlT_T0_E_clISt17integral_constantIbLb1EES19_IbLb0EEEEDaS15_S16_EUlS15_E_NS1_11comp_targetILNS1_3genE5ELNS1_11target_archE942ELNS1_3gpuE9ELNS1_3repE0EEENS1_30default_config_static_selectorELNS0_4arch9wavefront6targetE1EEEvT1_: ; @_ZN7rocprim17ROCPRIM_400000_NS6detail17trampoline_kernelINS0_14default_configENS1_25partition_config_selectorILNS1_17partition_subalgoE9EiibEEZZNS1_14partition_implILS5_9ELb0ES3_jPKiN6thrust23THRUST_200600_302600_NS17counting_iteratorIiNSB_11use_defaultESD_SD_EEPNS0_10empty_typeENS0_5tupleIJPiSF_EEENSH_IJSI_SG_EEENS0_18inequality_wrapperIN6hipcub16HIPCUB_304000_NS8EqualityEEEPlJSF_EEE10hipError_tPvRmT3_T4_T5_T6_T7_T9_mT8_P12ihipStream_tbDpT10_ENKUlT_T0_E_clISt17integral_constantIbLb1EES19_IbLb0EEEEDaS15_S16_EUlS15_E_NS1_11comp_targetILNS1_3genE5ELNS1_11target_archE942ELNS1_3gpuE9ELNS1_3repE0EEENS1_30default_config_static_selectorELNS0_4arch9wavefront6targetE1EEEvT1_
; %bb.0:
	s_load_dwordx2 s[10:11], s[0:1], 0x50
	s_load_dwordx4 s[4:7], s[0:1], 0x8
	s_load_dwordx4 s[36:39], s[0:1], 0x40
	s_load_dword s3, s[0:1], 0x68
	s_waitcnt lgkmcnt(0)
	v_mov_b32_e32 v3, s11
	s_lshl_b64 s[8:9], s[6:7], 2
	s_add_u32 s12, s4, s8
	s_mul_i32 s4, s3, 0x1e00
	s_addc_u32 s13, s5, s9
	s_add_i32 s11, s3, -1
	s_add_i32 s3, s4, s6
	s_sub_i32 s3, s10, s3
	s_add_u32 s4, s6, s4
	s_addc_u32 s5, s7, 0
	v_mov_b32_e32 v2, s10
	s_cmp_eq_u32 s2, s11
	s_load_dwordx2 s[34:35], s[38:39], 0x0
	v_cmp_ge_u64_e32 vcc, s[4:5], v[2:3]
	s_cselect_b64 s[38:39], -1, 0
	s_mul_i32 s8, s2, 0x1e00
	s_mov_b32 s9, 0
	s_and_b64 s[42:43], s[38:39], vcc
	s_xor_b64 s[40:41], s[42:43], -1
	s_lshl_b64 s[4:5], s[8:9], 2
	s_add_u32 s4, s12, s4
	s_mov_b64 s[10:11], -1
	s_addc_u32 s5, s13, s5
	s_and_b64 vcc, exec, s[40:41]
	s_cbranch_vccz .LBB28_2
; %bb.1:
	v_lshlrev_b32_e32 v2, 2, v0
	v_mov_b32_e32 v3, 0
	v_lshl_add_u64 v[4:5], s[4:5], 0, v[2:3]
	v_add_co_u32_e32 v6, vcc, 0x1000, v4
	global_load_dword v1, v2, s[4:5]
	global_load_dword v3, v2, s[4:5] offset:2048
	v_addc_co_u32_e32 v7, vcc, 0, v5, vcc
	v_add_co_u32_e32 v8, vcc, 0x2000, v4
	s_mov_b64 s[10:11], 0
	s_nop 0
	v_addc_co_u32_e32 v9, vcc, 0, v5, vcc
	v_add_co_u32_e32 v10, vcc, 0x3000, v4
	s_nop 1
	v_addc_co_u32_e32 v11, vcc, 0, v5, vcc
	v_add_co_u32_e32 v12, vcc, 0x4000, v4
	s_nop 1
	v_addc_co_u32_e32 v13, vcc, 0, v5, vcc
	global_load_dword v14, v[6:7], off
	global_load_dword v15, v[6:7], off offset:2048
	global_load_dword v16, v[8:9], off
	global_load_dword v17, v[8:9], off offset:2048
	global_load_dword v18, v[10:11], off
	global_load_dword v19, v[10:11], off offset:2048
	global_load_dword v20, v[12:13], off
	global_load_dword v21, v[12:13], off offset:2048
	v_add_co_u32_e32 v6, vcc, 0x5000, v4
	s_nop 1
	v_addc_co_u32_e32 v7, vcc, 0, v5, vcc
	v_add_co_u32_e32 v8, vcc, 0x6000, v4
	s_nop 1
	v_addc_co_u32_e32 v9, vcc, 0, v5, vcc
	global_load_dword v10, v[6:7], off
	global_load_dword v11, v[6:7], off offset:2048
	global_load_dword v12, v[8:9], off
	global_load_dword v13, v[8:9], off offset:2048
	v_add_co_u32_e32 v4, vcc, 0x7000, v4
	s_nop 1
	v_addc_co_u32_e32 v5, vcc, 0, v5, vcc
	global_load_dword v4, v[4:5], off
	s_waitcnt vmcnt(13)
	ds_write2st64_b32 v2, v1, v3 offset1:8
	s_waitcnt vmcnt(11)
	ds_write2st64_b32 v2, v14, v15 offset0:16 offset1:24
	s_waitcnt vmcnt(9)
	ds_write2st64_b32 v2, v16, v17 offset0:32 offset1:40
	;; [unrolled: 2-line block ×6, first 2 shown]
	s_waitcnt vmcnt(0)
	ds_write_b32 v2, v4 offset:28672
	s_waitcnt lgkmcnt(0)
	s_barrier
.LBB28_2:
	s_load_dword s9, s[0:1], 0x18
	s_andn2_b64 vcc, exec, s[10:11]
	s_addk_i32 s3, 0x1e00
	s_cbranch_vccnz .LBB28_34
; %bb.3:
	v_cmp_gt_u32_e32 vcc, s3, v0
                                        ; implicit-def: $vgpr2_vgpr3_vgpr4_vgpr5_vgpr6_vgpr7_vgpr8_vgpr9_vgpr10_vgpr11_vgpr12_vgpr13_vgpr14_vgpr15_vgpr16_vgpr17
	s_and_saveexec_b64 s[10:11], vcc
	s_cbranch_execz .LBB28_5
; %bb.4:
	v_lshlrev_b32_e32 v1, 2, v0
	global_load_dword v2, v1, s[4:5]
.LBB28_5:
	s_or_b64 exec, exec, s[10:11]
	v_or_b32_e32 v1, 0x200, v0
	v_cmp_gt_u32_e32 vcc, s3, v1
	s_and_saveexec_b64 s[10:11], vcc
	s_cbranch_execz .LBB28_7
; %bb.6:
	v_lshlrev_b32_e32 v1, 2, v0
	global_load_dword v3, v1, s[4:5] offset:2048
.LBB28_7:
	s_or_b64 exec, exec, s[10:11]
	v_or_b32_e32 v1, 0x400, v0
	v_cmp_gt_u32_e32 vcc, s3, v1
	s_and_saveexec_b64 s[10:11], vcc
	s_cbranch_execz .LBB28_9
; %bb.8:
	v_lshlrev_b32_e32 v1, 2, v1
	global_load_dword v4, v1, s[4:5]
.LBB28_9:
	s_or_b64 exec, exec, s[10:11]
	v_or_b32_e32 v1, 0x600, v0
	v_cmp_gt_u32_e32 vcc, s3, v1
	s_and_saveexec_b64 s[10:11], vcc
	s_cbranch_execz .LBB28_11
; %bb.10:
	v_lshlrev_b32_e32 v1, 2, v1
	global_load_dword v5, v1, s[4:5]
.LBB28_11:
	;; [unrolled: 9-line block ×13, first 2 shown]
	s_or_b64 exec, exec, s[10:11]
	v_lshlrev_b32_e32 v1, 2, v0
	s_waitcnt vmcnt(0)
	ds_write2st64_b32 v1, v2, v3 offset1:8
	ds_write2st64_b32 v1, v4, v5 offset0:16 offset1:24
	ds_write2st64_b32 v1, v6, v7 offset0:32 offset1:40
	;; [unrolled: 1-line block ×6, first 2 shown]
	ds_write_b32 v1, v16 offset:28672
	s_waitcnt lgkmcnt(0)
	s_barrier
.LBB28_34:
	v_mul_u32_u24_e32 v2, 15, v0
	v_lshlrev_b32_e32 v17, 2, v2
	s_waitcnt lgkmcnt(0)
	ds_read2_b32 v[44:45], v17 offset1:1
	ds_read2_b32 v[42:43], v17 offset0:2 offset1:3
	ds_read2_b32 v[40:41], v17 offset0:4 offset1:5
	;; [unrolled: 1-line block ×6, first 2 shown]
	ds_read_b32 v1, v17 offset:56
	s_add_i32 s8, s8, s6
	s_add_i32 s8, s8, s9
	v_add_u32_e32 v3, s8, v0
	s_mov_b64 s[8:9], -1
	s_and_b64 vcc, exec, s[40:41]
	s_waitcnt lgkmcnt(0)
	s_barrier
	s_cbranch_vccz .LBB28_36
; %bb.35:
	v_add_u32_e32 v4, 0x200, v3
	v_lshlrev_b32_e32 v19, 2, v0
	v_add_u32_e32 v5, 0x400, v3
	v_add_u32_e32 v6, 0x600, v3
	;; [unrolled: 1-line block ×13, first 2 shown]
	ds_write2st64_b32 v19, v3, v4 offset1:8
	ds_write2st64_b32 v19, v5, v6 offset0:16 offset1:24
	ds_write2st64_b32 v19, v7, v8 offset0:32 offset1:40
	;; [unrolled: 1-line block ×6, first 2 shown]
	ds_write_b32 v19, v18 offset:28672
	s_waitcnt lgkmcnt(0)
	s_barrier
	s_mov_b64 s[8:9], 0
.LBB28_36:
	s_andn2_b64 vcc, exec, s[8:9]
	s_cbranch_vccnz .LBB28_38
; %bb.37:
	s_movk_i32 s8, 0xffc8
	v_add_u32_e32 v4, 0x200, v3
	v_mad_i32_i24 v19, v0, s8, v17
	v_add_u32_e32 v5, 0x400, v3
	v_add_u32_e32 v6, 0x600, v3
	;; [unrolled: 1-line block ×13, first 2 shown]
	ds_write2st64_b32 v19, v3, v4 offset1:8
	ds_write2st64_b32 v19, v5, v6 offset0:16 offset1:24
	ds_write2st64_b32 v19, v7, v8 offset0:32 offset1:40
	ds_write2st64_b32 v19, v9, v10 offset0:48 offset1:56
	ds_write2st64_b32 v19, v11, v12 offset0:64 offset1:72
	ds_write2st64_b32 v19, v13, v14 offset0:80 offset1:88
	ds_write2st64_b32 v19, v15, v16 offset0:96 offset1:104
	ds_write_b32 v19, v18 offset:28672
	s_waitcnt lgkmcnt(0)
	s_barrier
.LBB28_38:
	ds_read2_b32 v[30:31], v17 offset1:1
	ds_read2_b32 v[28:29], v17 offset0:2 offset1:3
	ds_read2_b32 v[26:27], v17 offset0:4 offset1:5
	;; [unrolled: 1-line block ×6, first 2 shown]
	ds_read_b32 v48, v17 offset:56
	s_cmp_lg_u32 s2, 0
	s_cselect_b64 s[44:45], -1, 0
	s_cmp_lg_u64 s[6:7], 0
	s_cselect_b64 s[6:7], -1, 0
	s_or_b64 s[6:7], s[44:45], s[6:7]
	v_add_u32_e32 v16, 1, v2
	v_add_u32_e32 v15, 2, v2
	;; [unrolled: 1-line block ×14, first 2 shown]
	s_mov_b64 s[46:47], 0
	s_and_b64 vcc, exec, s[6:7]
	s_waitcnt lgkmcnt(0)
	s_barrier
	s_cbranch_vccz .LBB28_43
; %bb.39:
	s_add_u32 s4, s4, -4
	s_addc_u32 s5, s5, -1
	s_load_dword s8, s[4:5], 0x0
	v_lshlrev_b32_e32 v17, 2, v0
	s_and_b64 vcc, exec, s[40:41]
	ds_write_b32 v17, v1
	s_cbranch_vccz .LBB28_45
; %bb.40:
	v_cmp_ne_u32_e32 vcc, 0, v0
	s_waitcnt lgkmcnt(0)
	v_mov_b32_e32 v46, s8
	s_barrier
	s_and_saveexec_b64 s[4:5], vcc
	s_cbranch_execz .LBB28_42
; %bb.41:
	v_add_u32_e32 v46, -4, v17
	ds_read_b32 v46, v46
.LBB28_42:
	s_or_b64 exec, exec, s[4:5]
	v_cmp_ne_u32_e32 vcc, v33, v1
	s_waitcnt lgkmcnt(0)
	v_cmp_ne_u32_e64 s[4:5], v46, v44
	v_cndmask_b32_e64 v49, 0, 1, vcc
	v_cmp_ne_u32_e32 vcc, v32, v33
	s_nop 1
	v_cndmask_b32_e64 v50, 0, 1, vcc
	v_cmp_ne_u32_e32 vcc, v35, v32
	s_nop 1
	v_cndmask_b32_e64 v51, 0, 1, vcc
	v_cmp_ne_u32_e32 vcc, v34, v35
	s_nop 1
	v_cndmask_b32_e64 v52, 0, 1, vcc
	v_cmp_ne_u32_e32 vcc, v37, v34
	s_nop 1
	v_cndmask_b32_e64 v53, 0, 1, vcc
	v_cmp_ne_u32_e32 vcc, v36, v37
	s_nop 1
	v_cndmask_b32_e64 v54, 0, 1, vcc
	v_cmp_ne_u32_e32 vcc, v39, v36
	s_nop 1
	v_cndmask_b32_e64 v55, 0, 1, vcc
	v_cmp_ne_u32_e32 vcc, v38, v39
	s_nop 1
	v_cndmask_b32_e64 v56, 0, 1, vcc
	v_cmp_ne_u32_e32 vcc, v41, v38
	s_nop 1
	v_cndmask_b32_e64 v57, 0, 1, vcc
	v_cmp_ne_u32_e32 vcc, v40, v41
	s_nop 1
	v_cndmask_b32_e64 v58, 0, 1, vcc
	v_cmp_ne_u32_e32 vcc, v43, v40
	s_nop 1
	v_cndmask_b32_e64 v59, 0, 1, vcc
	v_cmp_ne_u32_e32 vcc, v42, v43
	s_nop 1
	v_cndmask_b32_e64 v60, 0, 1, vcc
	v_cmp_ne_u32_e32 vcc, v45, v42
	s_nop 1
	v_cndmask_b32_e64 v61, 0, 1, vcc
	v_cmp_ne_u32_e32 vcc, v44, v45
	s_nop 1
	v_cndmask_b32_e64 v62, 0, 1, vcc
	s_branch .LBB28_49
.LBB28_43:
                                        ; implicit-def: $sgpr4_sgpr5
                                        ; implicit-def: $vgpr49
                                        ; implicit-def: $vgpr50
                                        ; implicit-def: $vgpr51
                                        ; implicit-def: $vgpr52
                                        ; implicit-def: $vgpr53
                                        ; implicit-def: $vgpr54
                                        ; implicit-def: $vgpr55
                                        ; implicit-def: $vgpr62
                                        ; implicit-def: $vgpr61
                                        ; implicit-def: $vgpr60
                                        ; implicit-def: $vgpr59
                                        ; implicit-def: $vgpr58
                                        ; implicit-def: $vgpr57
                                        ; implicit-def: $vgpr56
	s_branch .LBB28_50
.LBB28_44:
                                        ; implicit-def: $sgpr8
	s_branch .LBB28_58
.LBB28_45:
                                        ; implicit-def: $sgpr4_sgpr5
                                        ; implicit-def: $vgpr49
                                        ; implicit-def: $vgpr50
                                        ; implicit-def: $vgpr51
                                        ; implicit-def: $vgpr52
                                        ; implicit-def: $vgpr53
                                        ; implicit-def: $vgpr54
                                        ; implicit-def: $vgpr55
                                        ; implicit-def: $vgpr62
                                        ; implicit-def: $vgpr61
                                        ; implicit-def: $vgpr60
                                        ; implicit-def: $vgpr59
                                        ; implicit-def: $vgpr58
                                        ; implicit-def: $vgpr57
                                        ; implicit-def: $vgpr56
	s_cbranch_execz .LBB28_49
; %bb.46:
	v_cmp_ne_u32_e32 vcc, 0, v0
	s_waitcnt lgkmcnt(0)
	v_mov_b32_e32 v46, s8
	s_barrier
	s_and_saveexec_b64 s[4:5], vcc
	s_cbranch_execz .LBB28_48
; %bb.47:
	v_add_u32_e32 v17, -4, v17
	ds_read_b32 v46, v17
.LBB28_48:
	s_or_b64 exec, exec, s[4:5]
	v_cmp_gt_u32_e32 vcc, s3, v3
	v_cmp_ne_u32_e64 s[4:5], v33, v1
	s_and_b64 s[4:5], vcc, s[4:5]
	v_cmp_gt_u32_e32 vcc, s3, v4
	v_cndmask_b32_e64 v49, 0, 1, s[4:5]
	v_cmp_ne_u32_e64 s[4:5], v32, v33
	s_and_b64 s[4:5], vcc, s[4:5]
	v_cmp_gt_u32_e32 vcc, s3, v5
	v_cndmask_b32_e64 v50, 0, 1, s[4:5]
	;; [unrolled: 4-line block ×14, first 2 shown]
	s_waitcnt lgkmcnt(0)
	v_cmp_ne_u32_e64 s[4:5], v46, v44
	s_and_b64 s[4:5], vcc, s[4:5]
.LBB28_49:
	s_mov_b64 s[46:47], -1
	s_cbranch_execnz .LBB28_44
.LBB28_50:
	v_lshlrev_b32_e32 v17, 2, v0
	s_and_b64 vcc, exec, s[40:41]
	v_cmp_ne_u32_e64 s[30:31], v33, v1
	v_cmp_ne_u32_e64 s[4:5], v32, v33
	;; [unrolled: 1-line block ×3, first 2 shown]
	s_waitcnt lgkmcnt(0)
	v_cmp_ne_u32_e64 s[8:9], v34, v35
	v_cmp_ne_u32_e64 s[10:11], v37, v34
	;; [unrolled: 1-line block ×11, first 2 shown]
	ds_write_b32 v17, v1
	s_cbranch_vccz .LBB28_54
; %bb.51:
	v_cndmask_b32_e64 v49, 0, 1, s[30:31]
	v_cndmask_b32_e64 v50, 0, 1, s[4:5]
	;; [unrolled: 1-line block ×14, first 2 shown]
	v_cmp_ne_u32_e32 vcc, 0, v0
	s_waitcnt lgkmcnt(0)
	s_barrier
	s_waitcnt lgkmcnt(0)
                                        ; implicit-def: $sgpr4_sgpr5
	s_and_saveexec_b64 s[6:7], vcc
	s_xor_b64 s[6:7], exec, s[6:7]
	s_cbranch_execz .LBB28_53
; %bb.52:
	v_add_u32_e32 v46, -4, v17
	ds_read_b32 v46, v46
	s_or_b64 s[46:47], s[46:47], exec
	s_waitcnt lgkmcnt(0)
	v_cmp_ne_u32_e32 vcc, v46, v44
	s_and_b64 s[4:5], vcc, exec
.LBB28_53:
	s_or_b64 exec, exec, s[6:7]
	s_mov_b32 s8, 1
	s_branch .LBB28_58
.LBB28_54:
                                        ; implicit-def: $sgpr4_sgpr5
                                        ; implicit-def: $vgpr49
                                        ; implicit-def: $vgpr50
                                        ; implicit-def: $vgpr51
                                        ; implicit-def: $vgpr52
                                        ; implicit-def: $vgpr53
                                        ; implicit-def: $vgpr54
                                        ; implicit-def: $vgpr55
                                        ; implicit-def: $vgpr62
                                        ; implicit-def: $vgpr61
                                        ; implicit-def: $vgpr60
                                        ; implicit-def: $vgpr59
                                        ; implicit-def: $vgpr58
                                        ; implicit-def: $vgpr57
                                        ; implicit-def: $vgpr56
                                        ; implicit-def: $sgpr8
	s_cbranch_execz .LBB28_58
; %bb.55:
	v_cmp_gt_u32_e32 vcc, s3, v3
	v_cmp_ne_u32_e64 s[4:5], v33, v1
	s_and_b64 s[4:5], vcc, s[4:5]
	v_cmp_gt_u32_e32 vcc, s3, v4
	v_cndmask_b32_e64 v49, 0, 1, s[4:5]
	v_cmp_ne_u32_e64 s[4:5], v32, v33
	s_and_b64 s[4:5], vcc, s[4:5]
	v_cmp_gt_u32_e32 vcc, s3, v5
	v_cndmask_b32_e64 v50, 0, 1, s[4:5]
	;; [unrolled: 4-line block ×13, first 2 shown]
	v_cmp_ne_u32_e64 s[4:5], v44, v45
	s_and_b64 s[4:5], vcc, s[4:5]
	v_cmp_ne_u32_e32 vcc, 0, v0
	v_cndmask_b32_e64 v62, 0, 1, s[4:5]
	s_waitcnt lgkmcnt(0)
	s_barrier
	s_waitcnt lgkmcnt(0)
                                        ; implicit-def: $sgpr4_sgpr5
	s_and_saveexec_b64 s[6:7], vcc
	s_cbranch_execz .LBB28_57
; %bb.56:
	v_add_u32_e32 v17, -4, v17
	ds_read_b32 v17, v17
	v_cmp_gt_u32_e32 vcc, s3, v2
	s_or_b64 s[46:47], s[46:47], exec
	s_waitcnt lgkmcnt(0)
	v_cmp_ne_u32_e64 s[4:5], v17, v44
	s_and_b64 s[4:5], vcc, s[4:5]
	s_and_b64 s[4:5], s[4:5], exec
.LBB28_57:
	s_or_b64 exec, exec, s[6:7]
	s_mov_b32 s8, 1
.LBB28_58:
	s_waitcnt lgkmcnt(0)
	v_mov_b32_e32 v47, s8
	s_and_saveexec_b64 s[6:7], s[46:47]
; %bb.59:
	v_cndmask_b32_e64 v47, 0, 1, s[4:5]
; %bb.60:
	s_or_b64 exec, exec, s[6:7]
	s_load_dwordx2 s[20:21], s[0:1], 0x60
	s_andn2_b64 vcc, exec, s[42:43]
	s_cbranch_vccnz .LBB28_62
; %bb.61:
	v_cmp_gt_u32_e32 vcc, s3, v2
	s_nop 1
	v_cndmask_b32_e32 v47, 0, v47, vcc
	v_cmp_gt_u32_e32 vcc, s3, v16
	s_nop 1
	v_cndmask_b32_e32 v62, 0, v62, vcc
	;; [unrolled: 3-line block ×15, first 2 shown]
.LBB28_62:
	v_and_b32_e32 v68, 0xff, v58
	v_and_b32_e32 v69, 0xff, v57
	;; [unrolled: 1-line block ×5, first 2 shown]
	v_add3_u32 v3, v69, v70, v68
	v_and_b32_e32 v64, 0xff, v62
	v_and_b32_e32 v65, 0xff, v61
	v_add3_u32 v3, v3, v67, v66
	v_and_b32_e32 v63, 0xff, v47
	v_and_b32_e32 v71, 0xff, v55
	;; [unrolled: 3-line block ×5, first 2 shown]
	v_add3_u32 v3, v3, v74, v75
	v_add3_u32 v79, v3, v76, v2
	v_mbcnt_lo_u32_b32 v2, -1, 0
	v_mbcnt_hi_u32_b32 v77, -1, v2
	v_and_b32_e32 v2, 15, v77
	v_cmp_eq_u32_e64 s[14:15], 0, v2
	v_cmp_lt_u32_e64 s[12:13], 1, v2
	v_cmp_lt_u32_e64 s[10:11], 3, v2
	;; [unrolled: 1-line block ×3, first 2 shown]
	v_and_b32_e32 v2, 16, v77
	v_cmp_eq_u32_e64 s[6:7], 0, v2
	v_or_b32_e32 v2, 63, v0
	v_cmp_lt_u32_e64 s[18:19], 31, v77
	v_lshrrev_b32_e32 v78, 6, v0
	v_cmp_eq_u32_e64 s[4:5], v2, v0
	s_and_b64 vcc, exec, s[44:45]
	s_waitcnt lgkmcnt(0)
	s_barrier
	s_cbranch_vccz .LBB28_93
; %bb.63:
	v_mov_b32_dpp v2, v79 row_shr:1 row_mask:0xf bank_mask:0xf
	v_cndmask_b32_e64 v2, v2, 0, s[14:15]
	v_add_u32_e32 v2, v2, v79
	s_nop 1
	v_mov_b32_dpp v3, v2 row_shr:2 row_mask:0xf bank_mask:0xf
	v_cndmask_b32_e64 v3, 0, v3, s[12:13]
	v_add_u32_e32 v2, v2, v3
	s_nop 1
	;; [unrolled: 4-line block ×4, first 2 shown]
	v_mov_b32_dpp v3, v2 row_bcast:15 row_mask:0xf bank_mask:0xf
	v_cndmask_b32_e64 v3, v3, 0, s[6:7]
	v_add_u32_e32 v2, v2, v3
	s_nop 1
	v_mov_b32_dpp v3, v2 row_bcast:31 row_mask:0xf bank_mask:0xf
	v_cndmask_b32_e64 v3, 0, v3, s[18:19]
	v_add_u32_e32 v2, v2, v3
	s_and_saveexec_b64 s[16:17], s[4:5]
	s_cbranch_execz .LBB28_65
; %bb.64:
	v_lshlrev_b32_e32 v3, 2, v78
	ds_write_b32 v3, v2
.LBB28_65:
	s_or_b64 exec, exec, s[16:17]
	v_cmp_gt_u32_e32 vcc, 8, v0
	s_waitcnt lgkmcnt(0)
	s_barrier
	s_and_saveexec_b64 s[16:17], vcc
	s_cbranch_execz .LBB28_67
; %bb.66:
	v_lshlrev_b32_e32 v3, 2, v0
	ds_read_b32 v4, v3
	v_and_b32_e32 v5, 7, v77
	v_cmp_ne_u32_e32 vcc, 0, v5
	s_waitcnt lgkmcnt(0)
	v_mov_b32_dpp v6, v4 row_shr:1 row_mask:0xf bank_mask:0xf
	v_cndmask_b32_e32 v6, 0, v6, vcc
	v_add_u32_e32 v4, v6, v4
	v_cmp_lt_u32_e32 vcc, 1, v5
	s_nop 0
	v_mov_b32_dpp v6, v4 row_shr:2 row_mask:0xf bank_mask:0xf
	v_cndmask_b32_e32 v6, 0, v6, vcc
	v_add_u32_e32 v4, v4, v6
	v_cmp_lt_u32_e32 vcc, 3, v5
	s_nop 0
	v_mov_b32_dpp v6, v4 row_shr:4 row_mask:0xf bank_mask:0xf
	v_cndmask_b32_e32 v5, 0, v6, vcc
	v_add_u32_e32 v4, v4, v5
	ds_write_b32 v3, v4
.LBB28_67:
	s_or_b64 exec, exec, s[16:17]
	v_cmp_gt_u32_e32 vcc, 64, v0
	v_cmp_lt_u32_e64 s[16:17], 63, v0
	s_waitcnt lgkmcnt(0)
	s_barrier
	s_waitcnt lgkmcnt(0)
                                        ; implicit-def: $vgpr12
	s_and_saveexec_b64 s[22:23], s[16:17]
	s_cbranch_execz .LBB28_69
; %bb.68:
	v_lshl_add_u32 v3, v78, 2, -4
	ds_read_b32 v12, v3
	s_waitcnt lgkmcnt(0)
	v_add_u32_e32 v2, v12, v2
.LBB28_69:
	s_or_b64 exec, exec, s[22:23]
	v_add_u32_e32 v3, -1, v77
	v_and_b32_e32 v4, 64, v77
	v_cmp_lt_i32_e64 s[16:17], v3, v4
	s_nop 1
	v_cndmask_b32_e64 v3, v3, v77, s[16:17]
	v_lshlrev_b32_e32 v3, 2, v3
	ds_bpermute_b32 v13, v3, v2
	v_cmp_eq_u32_e64 s[16:17], 0, v77
	s_and_saveexec_b64 s[22:23], vcc
	s_cbranch_execz .LBB28_92
; %bb.70:
	v_mov_b32_e32 v11, 0
	ds_read_b32 v2, v11 offset:28
	s_and_saveexec_b64 s[24:25], s[16:17]
	s_cbranch_execz .LBB28_72
; %bb.71:
	s_add_i32 s26, s2, 64
	s_mov_b32 s27, 0
	s_lshl_b64 s[26:27], s[26:27], 3
	s_add_u32 s26, s20, s26
	v_mov_b32_e32 v3, 1
	s_addc_u32 s27, s21, s27
	s_waitcnt lgkmcnt(0)
	global_store_dwordx2 v11, v[2:3], s[26:27] sc1
.LBB28_72:
	s_or_b64 exec, exec, s[24:25]
	v_xad_u32 v4, v77, -1, s2
	v_add_u32_e32 v10, 64, v4
	v_lshl_add_u64 v[6:7], v[10:11], 3, s[20:21]
	global_load_dwordx2 v[8:9], v[6:7], off sc1
	s_waitcnt vmcnt(0)
	v_cmp_eq_u16_sdwa s[26:27], v9, v11 src0_sel:BYTE_0 src1_sel:DWORD
	s_and_saveexec_b64 s[24:25], s[26:27]
	s_cbranch_execz .LBB28_78
; %bb.73:
	s_mov_b32 s3, 1
	s_mov_b64 s[26:27], 0
	v_mov_b32_e32 v3, 0
.LBB28_74:                              ; =>This Loop Header: Depth=1
                                        ;     Child Loop BB28_75 Depth 2
	s_max_u32 s28, s3, 1
.LBB28_75:                              ;   Parent Loop BB28_74 Depth=1
                                        ; =>  This Inner Loop Header: Depth=2
	s_add_i32 s28, s28, -1
	s_cmp_eq_u32 s28, 0
	s_sleep 1
	s_cbranch_scc0 .LBB28_75
; %bb.76:                               ;   in Loop: Header=BB28_74 Depth=1
	global_load_dwordx2 v[8:9], v[6:7], off sc1
	s_cmp_lt_u32 s3, 32
	s_cselect_b64 s[28:29], -1, 0
	s_cmp_lg_u64 s[28:29], 0
	s_addc_u32 s3, s3, 0
	s_waitcnt vmcnt(0)
	v_cmp_ne_u16_sdwa s[28:29], v9, v3 src0_sel:BYTE_0 src1_sel:DWORD
	s_or_b64 s[26:27], s[28:29], s[26:27]
	s_andn2_b64 exec, exec, s[26:27]
	s_cbranch_execnz .LBB28_74
; %bb.77:
	s_or_b64 exec, exec, s[26:27]
.LBB28_78:
	s_or_b64 exec, exec, s[24:25]
	v_and_b32_e32 v15, 63, v77
	v_mov_b32_e32 v14, 2
	v_cmp_ne_u32_e32 vcc, 63, v15
	v_cmp_eq_u16_sdwa s[24:25], v9, v14 src0_sel:BYTE_0 src1_sel:DWORD
	v_lshlrev_b64 v[6:7], v77, -1
	v_addc_co_u32_e32 v10, vcc, 0, v77, vcc
	v_and_b32_e32 v3, s25, v7
	v_lshlrev_b32_e32 v16, 2, v10
	v_or_b32_e32 v3, 0x80000000, v3
	ds_bpermute_b32 v10, v16, v8
	v_and_b32_e32 v5, s24, v6
	v_ffbl_b32_e32 v3, v3
	v_add_u32_e32 v3, 32, v3
	v_ffbl_b32_e32 v5, v5
	v_min_u32_e32 v3, v5, v3
	v_cmp_lt_u32_e32 vcc, v15, v3
	v_add_u32_e32 v46, 2, v15
	v_add_u32_e32 v81, 4, v15
	s_waitcnt lgkmcnt(0)
	v_cndmask_b32_e32 v5, 0, v10, vcc
	v_cmp_gt_u32_e32 vcc, 62, v15
	v_add_u32_e32 v5, v5, v8
	v_add_u32_e32 v83, 8, v15
	v_cndmask_b32_e64 v8, 0, 1, vcc
	v_lshlrev_b32_e32 v8, 1, v8
	v_add_lshl_u32 v17, v8, v77, 2
	ds_bpermute_b32 v8, v17, v5
	v_cmp_le_u32_e32 vcc, v46, v3
	v_add_u32_e32 v85, 16, v15
	v_add_u32_e32 v87, 32, v15
	s_waitcnt lgkmcnt(0)
	v_cndmask_b32_e32 v8, 0, v8, vcc
	v_cmp_gt_u32_e32 vcc, 60, v15
	v_add_u32_e32 v5, v5, v8
	s_nop 0
	v_cndmask_b32_e64 v8, 0, 1, vcc
	v_lshlrev_b32_e32 v8, 2, v8
	v_add_lshl_u32 v80, v8, v77, 2
	ds_bpermute_b32 v8, v80, v5
	v_cmp_le_u32_e32 vcc, v81, v3
	s_waitcnt lgkmcnt(0)
	s_nop 0
	v_cndmask_b32_e32 v8, 0, v8, vcc
	v_cmp_gt_u32_e32 vcc, 56, v15
	v_add_u32_e32 v5, v5, v8
	s_nop 0
	v_cndmask_b32_e64 v8, 0, 1, vcc
	v_lshlrev_b32_e32 v8, 3, v8
	v_add_lshl_u32 v82, v8, v77, 2
	ds_bpermute_b32 v8, v82, v5
	v_cmp_le_u32_e32 vcc, v83, v3
	s_waitcnt lgkmcnt(0)
	s_nop 0
	;; [unrolled: 11-line block ×4, first 2 shown]
	v_cndmask_b32_e32 v3, 0, v8, vcc
	v_add_u32_e32 v8, v5, v3
	v_mov_b32_e32 v5, 0
	s_branch .LBB28_80
.LBB28_79:                              ;   in Loop: Header=BB28_80 Depth=1
	s_or_b64 exec, exec, s[24:25]
	v_cmp_eq_u16_sdwa s[24:25], v9, v14 src0_sel:BYTE_0 src1_sel:DWORD
	ds_bpermute_b32 v88, v16, v8
	v_subrev_u32_e32 v4, 64, v4
	v_and_b32_e32 v10, s25, v7
	v_or_b32_e32 v10, 0x80000000, v10
	v_and_b32_e32 v11, s24, v6
	v_ffbl_b32_e32 v10, v10
	v_add_u32_e32 v10, 32, v10
	v_ffbl_b32_e32 v11, v11
	v_min_u32_e32 v10, v11, v10
	v_cmp_lt_u32_e32 vcc, v15, v10
	s_waitcnt lgkmcnt(0)
	s_nop 0
	v_cndmask_b32_e32 v11, 0, v88, vcc
	v_add_u32_e32 v8, v11, v8
	ds_bpermute_b32 v11, v17, v8
	v_cmp_le_u32_e32 vcc, v46, v10
	s_waitcnt lgkmcnt(0)
	s_nop 0
	v_cndmask_b32_e32 v11, 0, v11, vcc
	v_add_u32_e32 v8, v8, v11
	ds_bpermute_b32 v11, v80, v8
	v_cmp_le_u32_e32 vcc, v81, v10
	;; [unrolled: 6-line block ×5, first 2 shown]
	s_waitcnt lgkmcnt(0)
	s_nop 0
	v_cndmask_b32_e32 v10, 0, v11, vcc
	v_add3_u32 v8, v10, v3, v8
.LBB28_80:                              ; =>This Loop Header: Depth=1
                                        ;     Child Loop BB28_83 Depth 2
                                        ;       Child Loop BB28_84 Depth 3
	v_cmp_ne_u16_sdwa s[24:25], v9, v14 src0_sel:BYTE_0 src1_sel:DWORD
	s_nop 1
	v_cndmask_b32_e64 v3, 0, 1, s[24:25]
	;;#ASMSTART
	;;#ASMEND
	s_nop 0
	v_cmp_ne_u32_e32 vcc, 0, v3
	s_cmp_lg_u64 vcc, exec
	v_mov_b32_e32 v3, v8
	s_cbranch_scc1 .LBB28_87
; %bb.81:                               ;   in Loop: Header=BB28_80 Depth=1
	v_lshl_add_u64 v[10:11], v[4:5], 3, s[20:21]
	global_load_dwordx2 v[8:9], v[10:11], off sc1
	s_waitcnt vmcnt(0)
	v_cmp_eq_u16_sdwa s[26:27], v9, v5 src0_sel:BYTE_0 src1_sel:DWORD
	s_and_saveexec_b64 s[24:25], s[26:27]
	s_cbranch_execz .LBB28_79
; %bb.82:                               ;   in Loop: Header=BB28_80 Depth=1
	s_mov_b32 s3, 1
	s_mov_b64 s[26:27], 0
.LBB28_83:                              ;   Parent Loop BB28_80 Depth=1
                                        ; =>  This Loop Header: Depth=2
                                        ;       Child Loop BB28_84 Depth 3
	s_max_u32 s28, s3, 1
.LBB28_84:                              ;   Parent Loop BB28_80 Depth=1
                                        ;     Parent Loop BB28_83 Depth=2
                                        ; =>    This Inner Loop Header: Depth=3
	s_add_i32 s28, s28, -1
	s_cmp_eq_u32 s28, 0
	s_sleep 1
	s_cbranch_scc0 .LBB28_84
; %bb.85:                               ;   in Loop: Header=BB28_83 Depth=2
	global_load_dwordx2 v[8:9], v[10:11], off sc1
	s_cmp_lt_u32 s3, 32
	s_cselect_b64 s[28:29], -1, 0
	s_cmp_lg_u64 s[28:29], 0
	s_addc_u32 s3, s3, 0
	s_waitcnt vmcnt(0)
	v_cmp_ne_u16_sdwa s[28:29], v9, v5 src0_sel:BYTE_0 src1_sel:DWORD
	s_or_b64 s[26:27], s[28:29], s[26:27]
	s_andn2_b64 exec, exec, s[26:27]
	s_cbranch_execnz .LBB28_83
; %bb.86:                               ;   in Loop: Header=BB28_80 Depth=1
	s_or_b64 exec, exec, s[26:27]
	s_branch .LBB28_79
.LBB28_87:                              ;   in Loop: Header=BB28_80 Depth=1
                                        ; implicit-def: $vgpr8
                                        ; implicit-def: $vgpr9
	s_cbranch_execz .LBB28_80
; %bb.88:
	s_and_saveexec_b64 s[24:25], s[16:17]
	s_cbranch_execz .LBB28_90
; %bb.89:
	s_add_i32 s2, s2, 64
	s_mov_b32 s3, 0
	s_lshl_b64 s[2:3], s[2:3], 3
	s_add_u32 s2, s20, s2
	v_add_u32_e32 v4, v3, v2
	v_mov_b32_e32 v5, 2
	s_addc_u32 s3, s21, s3
	v_mov_b32_e32 v6, 0
	global_store_dwordx2 v6, v[4:5], s[2:3] sc1
	ds_write_b64 v6, v[2:3] offset:30720
.LBB28_90:
	s_or_b64 exec, exec, s[24:25]
	v_cmp_eq_u32_e32 vcc, 0, v0
	s_and_b64 exec, exec, vcc
	s_cbranch_execz .LBB28_92
; %bb.91:
	v_mov_b32_e32 v2, 0
	ds_write_b32 v2, v3 offset:28
.LBB28_92:
	s_or_b64 exec, exec, s[22:23]
	v_mov_b32_e32 v14, 0
	s_waitcnt lgkmcnt(0)
	s_barrier
	ds_read_b32 v2, v14 offset:28
	v_cndmask_b32_e64 v3, v13, v12, s[16:17]
	v_cmp_ne_u32_e32 vcc, 0, v0
	s_waitcnt lgkmcnt(0)
	s_barrier
	v_cndmask_b32_e32 v3, 0, v3, vcc
	v_add_u32_e32 v2, v2, v3
	v_add_u32_e32 v3, v2, v63
	;; [unrolled: 1-line block ×10, first 2 shown]
	ds_read_b64 v[80:81], v14 offset:30720
	v_add_u32_e32 v12, v11, v72
	v_add_u32_e32 v13, v12, v73
	;; [unrolled: 1-line block ×5, first 2 shown]
	s_waitcnt lgkmcnt(0)
	v_readfirstlane_b32 s16, v80
	v_mov_b32_e32 v46, v81
	s_branch .LBB28_103
.LBB28_93:
                                        ; implicit-def: $vgpr46
                                        ; implicit-def: $sgpr16
                                        ; implicit-def: $vgpr2_vgpr3_vgpr4_vgpr5_vgpr6_vgpr7_vgpr8_vgpr9_vgpr10_vgpr11_vgpr12_vgpr13_vgpr14_vgpr15_vgpr16_vgpr17
	s_cbranch_execz .LBB28_103
; %bb.94:
	s_nop 0
	v_mov_b32_dpp v2, v79 row_shr:1 row_mask:0xf bank_mask:0xf
	v_cndmask_b32_e64 v2, v2, 0, s[14:15]
	v_add_u32_e32 v2, v2, v79
	s_nop 1
	v_mov_b32_dpp v3, v2 row_shr:2 row_mask:0xf bank_mask:0xf
	v_cndmask_b32_e64 v3, 0, v3, s[12:13]
	v_add_u32_e32 v2, v2, v3
	;; [unrolled: 4-line block ×4, first 2 shown]
	s_nop 1
	v_mov_b32_dpp v3, v2 row_bcast:15 row_mask:0xf bank_mask:0xf
	v_cndmask_b32_e64 v3, v3, 0, s[6:7]
	v_add_u32_e32 v2, v2, v3
	s_nop 1
	v_mov_b32_dpp v3, v2 row_bcast:31 row_mask:0xf bank_mask:0xf
	v_cndmask_b32_e64 v3, 0, v3, s[18:19]
	v_add_u32_e32 v2, v2, v3
	s_and_saveexec_b64 s[2:3], s[4:5]
	s_cbranch_execz .LBB28_96
; %bb.95:
	v_lshlrev_b32_e32 v3, 2, v78
	ds_write_b32 v3, v2
.LBB28_96:
	s_or_b64 exec, exec, s[2:3]
	v_cmp_gt_u32_e32 vcc, 8, v0
	s_waitcnt lgkmcnt(0)
	s_barrier
	s_and_saveexec_b64 s[2:3], vcc
	s_cbranch_execz .LBB28_98
; %bb.97:
	v_lshlrev_b32_e32 v3, 2, v0
	ds_read_b32 v4, v3
	v_and_b32_e32 v5, 7, v77
	v_cmp_ne_u32_e32 vcc, 0, v5
	s_waitcnt lgkmcnt(0)
	v_mov_b32_dpp v6, v4 row_shr:1 row_mask:0xf bank_mask:0xf
	v_cndmask_b32_e32 v6, 0, v6, vcc
	v_add_u32_e32 v4, v6, v4
	v_cmp_lt_u32_e32 vcc, 1, v5
	s_nop 0
	v_mov_b32_dpp v6, v4 row_shr:2 row_mask:0xf bank_mask:0xf
	v_cndmask_b32_e32 v6, 0, v6, vcc
	v_add_u32_e32 v4, v4, v6
	v_cmp_lt_u32_e32 vcc, 3, v5
	s_nop 0
	v_mov_b32_dpp v6, v4 row_shr:4 row_mask:0xf bank_mask:0xf
	v_cndmask_b32_e32 v5, 0, v6, vcc
	v_add_u32_e32 v4, v4, v5
	ds_write_b32 v3, v4
.LBB28_98:
	s_or_b64 exec, exec, s[2:3]
	v_cmp_lt_u32_e32 vcc, 63, v0
	v_mov_b32_e32 v4, 0
	v_mov_b32_e32 v3, 0
	s_waitcnt lgkmcnt(0)
	s_barrier
	s_and_saveexec_b64 s[2:3], vcc
	s_cbranch_execz .LBB28_100
; %bb.99:
	v_lshl_add_u32 v3, v78, 2, -4
	ds_read_b32 v3, v3
.LBB28_100:
	s_or_b64 exec, exec, s[2:3]
	v_add_u32_e32 v5, -1, v77
	v_and_b32_e32 v6, 64, v77
	v_cmp_lt_i32_e32 vcc, v5, v6
	s_waitcnt lgkmcnt(0)
	v_add_u32_e32 v2, v3, v2
	ds_read_b32 v4, v4 offset:28
	v_cndmask_b32_e32 v5, v5, v77, vcc
	v_lshlrev_b32_e32 v5, 2, v5
	ds_bpermute_b32 v2, v5, v2
	v_cmp_eq_u32_e32 vcc, 0, v0
	s_waitcnt lgkmcnt(1)
	v_readfirstlane_b32 s16, v4
	s_and_saveexec_b64 s[2:3], vcc
	s_cbranch_execz .LBB28_102
; %bb.101:
	v_mov_b32_e32 v6, 0
	v_mov_b32_e32 v4, s16
	;; [unrolled: 1-line block ×3, first 2 shown]
	global_store_dwordx2 v6, v[4:5], s[20:21] offset:512 sc1
.LBB28_102:
	s_or_b64 exec, exec, s[2:3]
	v_cmp_eq_u32_e64 s[2:3], 0, v77
	v_mov_b32_e32 v46, 0
	s_waitcnt lgkmcnt(0)
	v_cndmask_b32_e64 v2, v2, v3, s[2:3]
	v_cndmask_b32_e64 v2, v2, 0, vcc
	v_add_u32_e32 v3, v2, v63
	v_add_u32_e32 v4, v3, v64
	;; [unrolled: 1-line block ×14, first 2 shown]
	s_barrier
.LBB28_103:
	s_load_dwordx4 s[4:7], s[0:1], 0x28
	s_cmpk_lt_u32 s16, 0x201
	s_cselect_b64 s[2:3], -1, 0
	v_add_u32_e32 v63, s16, v46
	s_mov_b64 s[8:9], -1
	s_and_b64 vcc, exec, s[2:3]
	v_cmp_lt_u32_e64 s[0:1], v2, v63
	s_cbranch_vccz .LBB28_150
; %bb.104:
	s_lshl_b64 s[8:9], s[34:35], 2
	s_waitcnt lgkmcnt(0)
	s_add_u32 s8, s4, s8
	s_addc_u32 s9, s5, s9
	s_or_b64 s[10:11], s[40:41], s[0:1]
	s_and_saveexec_b64 s[0:1], s[10:11]
	s_cbranch_execz .LBB28_107
; %bb.105:
	v_and_b32_e32 v17, 1, v47
	v_cmp_eq_u32_e32 vcc, 1, v17
	s_and_b64 exec, exec, vcc
	s_cbranch_execz .LBB28_107
; %bb.106:
	v_mov_b32_e32 v65, 0
	v_mov_b32_e32 v64, v2
	v_lshl_add_u64 v[64:65], v[64:65], 2, s[8:9]
	global_store_dword v[64:65], v44, off
.LBB28_107:
	s_or_b64 exec, exec, s[0:1]
	v_cmp_lt_u32_e32 vcc, v3, v63
	s_or_b64 s[10:11], s[40:41], vcc
	s_and_saveexec_b64 s[0:1], s[10:11]
	s_cbranch_execz .LBB28_110
; %bb.108:
	v_and_b32_e32 v17, 1, v62
	v_cmp_eq_u32_e32 vcc, 1, v17
	s_and_b64 exec, exec, vcc
	s_cbranch_execz .LBB28_110
; %bb.109:
	v_mov_b32_e32 v65, 0
	v_mov_b32_e32 v64, v3
	v_lshl_add_u64 v[64:65], v[64:65], 2, s[8:9]
	global_store_dword v[64:65], v45, off
.LBB28_110:
	s_or_b64 exec, exec, s[0:1]
	v_cmp_lt_u32_e32 vcc, v4, v63
	s_or_b64 s[10:11], s[40:41], vcc
	;; [unrolled: 16-line block ×14, first 2 shown]
	s_and_saveexec_b64 s[0:1], s[10:11]
	s_cbranch_execz .LBB28_149
; %bb.147:
	v_and_b32_e32 v17, 1, v49
	v_cmp_eq_u32_e32 vcc, 1, v17
	s_and_b64 exec, exec, vcc
	s_cbranch_execz .LBB28_149
; %bb.148:
	v_mov_b32_e32 v17, 0
	v_lshl_add_u64 v[64:65], v[16:17], 2, s[8:9]
	global_store_dword v[64:65], v1, off
.LBB28_149:
	s_or_b64 exec, exec, s[0:1]
	s_mov_b64 s[8:9], 0
.LBB28_150:
	v_and_b32_e32 v64, 1, v47
	s_and_b64 vcc, exec, s[8:9]
	v_cmp_eq_u32_e64 s[0:1], 1, v64
	s_cbranch_vccz .LBB28_195
; %bb.151:
	s_and_saveexec_b64 s[8:9], s[0:1]
	s_cbranch_execz .LBB28_153
; %bb.152:
	v_sub_u32_e32 v17, v2, v46
	v_lshlrev_b32_e32 v17, 2, v17
	ds_write_b32 v17, v44
.LBB28_153:
	s_or_b64 exec, exec, s[8:9]
	v_and_b32_e32 v17, 1, v62
	v_cmp_eq_u32_e32 vcc, 1, v17
	s_and_saveexec_b64 s[0:1], vcc
	s_cbranch_execz .LBB28_155
; %bb.154:
	v_sub_u32_e32 v17, v3, v46
	v_lshlrev_b32_e32 v17, 2, v17
	ds_write_b32 v17, v45
.LBB28_155:
	s_or_b64 exec, exec, s[0:1]
	v_and_b32_e32 v17, 1, v61
	v_cmp_eq_u32_e32 vcc, 1, v17
	s_and_saveexec_b64 s[0:1], vcc
	;; [unrolled: 10-line block ×14, first 2 shown]
	s_cbranch_execz .LBB28_181
; %bb.180:
	v_sub_u32_e32 v17, v16, v46
	v_lshlrev_b32_e32 v17, 2, v17
	ds_write_b32 v17, v1
.LBB28_181:
	s_or_b64 exec, exec, s[0:1]
	v_cmp_gt_u32_e32 vcc, s16, v0
	s_waitcnt lgkmcnt(0)
	s_barrier
	s_and_saveexec_b64 s[0:1], vcc
	s_cbranch_execz .LBB28_194
; %bb.182:
	s_lshl_b64 s[8:9], s[34:35], 2
	v_mov_b32_e32 v47, 0
	s_add_u32 s4, s4, s8
	s_addc_u32 s5, s5, s9
	v_lshlrev_b64 v[32:33], 2, v[46:47]
	v_lshl_add_u64 v[32:33], s[4:5], 0, v[32:33]
	v_xad_u32 v1, v0, -1, s16
	s_movk_i32 s4, 0x1ff
	v_cmp_lt_u32_e32 vcc, s4, v1
	s_mov_b64 s[8:9], -1
	v_mov_b32_e32 v34, v0
	s_and_saveexec_b64 s[4:5], vcc
	s_cbranch_execz .LBB28_191
; %bb.183:
	v_lshrrev_b32_e32 v17, 9, v1
	v_add_u32_e32 v34, -1, v17
	v_or_b32_e32 v1, 0x200, v0
	v_lshrrev_b32_e32 v35, 1, v34
	v_add_u32_e32 v38, 1, v35
	v_cmp_lt_u32_e32 vcc, 13, v34
	v_mov_b64_e32 v[34:35], v[0:1]
	s_and_saveexec_b64 s[8:9], vcc
	s_cbranch_execz .LBB28_187
; %bb.184:
	v_and_b32_e32 v39, -8, v38
	v_lshlrev_b32_e32 v40, 2, v0
	s_mov_b32 s12, 0
	s_mov_b64 s[10:11], 0
	v_mov_b32_e32 v37, 0
	v_mov_b64_e32 v[34:35], v[0:1]
.LBB28_185:                             ; =>This Inner Loop Header: Depth=1
	ds_read2st64_b32 v[42:43], v40 offset1:8
	v_mov_b32_e32 v36, v34
	ds_read2st64_b32 v[74:75], v40 offset0:48 offset1:56
	v_lshl_add_u64 v[92:93], v[36:37], 2, v[32:33]
	v_mov_b32_e32 v36, v35
	ds_read2st64_b32 v[66:67], v40 offset0:16 offset1:24
	ds_read2st64_b32 v[78:79], v40 offset0:64 offset1:72
	v_lshl_add_u64 v[94:95], v[36:37], 2, v[32:33]
	v_add_u32_e32 v36, 0x400, v34
	ds_read2st64_b32 v[82:83], v40 offset0:80 offset1:88
	v_lshl_add_u64 v[96:97], v[36:37], 2, v[32:33]
	v_add_u32_e32 v36, 0x800, v34
	v_add_u32_e32 v44, 0x400, v35
	v_mov_b32_e32 v45, v37
	v_add_u32_e32 v68, 0x800, v35
	ds_read2st64_b32 v[70:71], v40 offset0:32 offset1:40
	v_mov_b32_e32 v69, v37
	ds_read2st64_b32 v[86:87], v40 offset0:96 offset1:104
	v_lshl_add_u64 v[98:99], v[36:37], 2, v[32:33]
	v_add_u32_e32 v36, 0xc00, v34
	v_add_u32_e32 v72, 0xc00, v35
	v_mov_b32_e32 v73, v37
	ds_read2st64_b32 v[90:91], v40 offset0:112 offset1:120
	v_lshl_add_u64 v[44:45], v[44:45], 2, v[32:33]
	v_lshl_add_u64 v[68:69], v[68:69], 2, v[32:33]
	s_waitcnt lgkmcnt(7)
	global_store_dword v[92:93], v42, off
	global_store_dword v[94:95], v43, off
	s_waitcnt lgkmcnt(5)
	global_store_dword v[96:97], v66, off
	global_store_dword v[44:45], v67, off
	;; [unrolled: 3-line block ×3, first 2 shown]
	v_lshl_add_u64 v[42:43], v[36:37], 2, v[32:33]
	v_add_u32_e32 v36, 0x1000, v34
	v_add_u32_e32 v76, 0x1000, v35
	v_mov_b32_e32 v77, v37
	v_lshl_add_u64 v[72:73], v[72:73], 2, v[32:33]
	global_store_dword v[42:43], v74, off
	global_store_dword v[72:73], v75, off
	v_lshl_add_u64 v[42:43], v[36:37], 2, v[32:33]
	v_add_u32_e32 v36, 0x1400, v34
	v_add_u32_e32 v80, 0x1400, v35
	v_mov_b32_e32 v81, v37
	v_add_u32_e32 v39, -8, v39
	v_lshl_add_u64 v[76:77], v[76:77], 2, v[32:33]
	global_store_dword v[42:43], v78, off
	global_store_dword v[76:77], v79, off
	v_lshl_add_u64 v[42:43], v[36:37], 2, v[32:33]
	v_add_u32_e32 v36, 0x1800, v34
	v_add_u32_e32 v84, 0x1800, v35
	v_mov_b32_e32 v85, v37
	s_add_i32 s12, s12, 16
	v_lshl_add_u64 v[80:81], v[80:81], 2, v[32:33]
	v_cmp_eq_u32_e32 vcc, 0, v39
	global_store_dword v[42:43], v82, off
	global_store_dword v[80:81], v83, off
	v_lshl_add_u64 v[42:43], v[36:37], 2, v[32:33]
	v_add_u32_e32 v36, 0x1c00, v34
	v_add_u32_e32 v88, 0x1c00, v35
	v_mov_b32_e32 v89, v37
	v_add_u32_e32 v40, 0x8000, v40
	v_lshl_add_u64 v[84:85], v[84:85], 2, v[32:33]
	v_add_u32_e32 v35, 0x2000, v35
	v_mov_b32_e32 v47, s12
	s_or_b64 s[10:11], vcc, s[10:11]
	v_add_u32_e32 v34, 0x2000, v34
	s_waitcnt lgkmcnt(1)
	global_store_dword v[42:43], v86, off
	global_store_dword v[84:85], v87, off
	v_lshl_add_u64 v[42:43], v[36:37], 2, v[32:33]
	v_lshl_add_u64 v[88:89], v[88:89], 2, v[32:33]
	s_waitcnt lgkmcnt(0)
	global_store_dword v[42:43], v90, off
	global_store_dword v[88:89], v91, off
	s_andn2_b64 exec, exec, s[10:11]
	s_cbranch_execnz .LBB28_185
; %bb.186:
	s_or_b64 exec, exec, s[10:11]
.LBB28_187:
	s_or_b64 exec, exec, s[8:9]
	v_and_b32_e32 v1, 7, v38
	v_cmp_ne_u32_e32 vcc, 0, v1
	s_and_saveexec_b64 s[8:9], vcc
	s_cbranch_execz .LBB28_190
; %bb.188:
	v_lshlrev_b32_e32 v36, 2, v0
	v_lshl_or_b32 v38, v47, 11, v36
	s_mov_b64 s[10:11], 0
	v_mov_b32_e32 v37, 0
.LBB28_189:                             ; =>This Inner Loop Header: Depth=1
	ds_read2st64_b32 v[40:41], v38 offset1:8
	v_add_u32_e32 v1, -1, v1
	v_mov_b32_e32 v36, v34
	v_cmp_eq_u32_e32 vcc, 0, v1
	v_add_u32_e32 v34, 0x400, v34
	v_add_u32_e32 v38, 0x1000, v38
	v_lshl_add_u64 v[42:43], v[36:37], 2, v[32:33]
	v_mov_b32_e32 v36, v35
	v_add_u32_e32 v35, 0x400, v35
	s_or_b64 s[10:11], vcc, s[10:11]
	v_lshl_add_u64 v[44:45], v[36:37], 2, v[32:33]
	s_waitcnt lgkmcnt(0)
	global_store_dword v[42:43], v40, off
	global_store_dword v[44:45], v41, off
	s_andn2_b64 exec, exec, s[10:11]
	s_cbranch_execnz .LBB28_189
.LBB28_190:
	s_or_b64 exec, exec, s[8:9]
	v_add_u32_e32 v1, 1, v17
	v_and_b32_e32 v17, 0xfffffe, v1
	v_cmp_ne_u32_e32 vcc, v1, v17
	v_lshl_or_b32 v34, v17, 9, v0
	s_orn2_b64 s[8:9], vcc, exec
.LBB28_191:
	s_or_b64 exec, exec, s[4:5]
	s_and_b64 exec, exec, s[8:9]
	s_cbranch_execz .LBB28_194
; %bb.192:
	v_lshlrev_b32_e32 v1, 2, v34
	s_mov_b64 s[4:5], 0
	v_mov_b32_e32 v35, 0
.LBB28_193:                             ; =>This Inner Loop Header: Depth=1
	ds_read_b32 v17, v1
	v_lshl_add_u64 v[36:37], v[34:35], 2, v[32:33]
	v_add_u32_e32 v34, 0x200, v34
	v_cmp_le_u32_e32 vcc, s16, v34
	v_add_u32_e32 v1, 0x800, v1
	s_or_b64 s[4:5], vcc, s[4:5]
	s_waitcnt lgkmcnt(0)
	global_store_dword v[36:37], v17, off
	s_andn2_b64 exec, exec, s[4:5]
	s_cbranch_execnz .LBB28_193
.LBB28_194:
	s_or_b64 exec, exec, s[0:1]
.LBB28_195:
	s_mov_b64 s[0:1], -1
	s_and_b64 vcc, exec, s[2:3]
	s_waitcnt lgkmcnt(0)
	s_barrier
	s_cbranch_vccnz .LBB28_199
; %bb.196:
	s_and_b64 vcc, exec, s[0:1]
	s_cbranch_vccnz .LBB28_245
.LBB28_197:
	v_cmp_eq_u32_e32 vcc, 0, v0
	s_and_b64 s[0:1], vcc, s[38:39]
	s_and_saveexec_b64 s[2:3], s[0:1]
	s_cbranch_execnz .LBB28_289
.LBB28_198:
	s_endpgm
.LBB28_199:
	s_lshl_b64 s[0:1], s[34:35], 2
	s_add_u32 s0, s6, s0
	v_cmp_lt_u32_e32 vcc, v2, v63
	s_addc_u32 s1, s7, s1
	s_or_b64 s[4:5], s[40:41], vcc
	s_and_saveexec_b64 s[2:3], s[4:5]
	s_cbranch_execz .LBB28_202
; %bb.200:
	v_cmp_eq_u32_e32 vcc, 1, v64
	s_and_b64 exec, exec, vcc
	s_cbranch_execz .LBB28_202
; %bb.201:
	v_mov_b32_e32 v33, 0
	v_mov_b32_e32 v32, v2
	v_lshl_add_u64 v[32:33], v[32:33], 2, s[0:1]
	global_store_dword v[32:33], v30, off
.LBB28_202:
	s_or_b64 exec, exec, s[2:3]
	v_cmp_lt_u32_e32 vcc, v3, v63
	s_or_b64 s[4:5], s[40:41], vcc
	s_and_saveexec_b64 s[2:3], s[4:5]
	s_cbranch_execz .LBB28_205
; %bb.203:
	v_and_b32_e32 v1, 1, v62
	v_cmp_eq_u32_e32 vcc, 1, v1
	s_and_b64 exec, exec, vcc
	s_cbranch_execz .LBB28_205
; %bb.204:
	v_mov_b32_e32 v33, 0
	v_mov_b32_e32 v32, v3
	v_lshl_add_u64 v[32:33], v[32:33], 2, s[0:1]
	global_store_dword v[32:33], v31, off
.LBB28_205:
	s_or_b64 exec, exec, s[2:3]
	v_cmp_lt_u32_e32 vcc, v4, v63
	s_or_b64 s[4:5], s[40:41], vcc
	s_and_saveexec_b64 s[2:3], s[4:5]
	s_cbranch_execz .LBB28_208
; %bb.206:
	v_and_b32_e32 v1, 1, v61
	v_cmp_eq_u32_e32 vcc, 1, v1
	s_and_b64 exec, exec, vcc
	s_cbranch_execz .LBB28_208
; %bb.207:
	v_mov_b32_e32 v33, 0
	v_mov_b32_e32 v32, v4
	v_lshl_add_u64 v[32:33], v[32:33], 2, s[0:1]
	global_store_dword v[32:33], v28, off
.LBB28_208:
	;; [unrolled: 16-line block ×13, first 2 shown]
	s_or_b64 exec, exec, s[2:3]
	v_cmp_lt_u32_e32 vcc, v16, v63
	s_or_b64 s[4:5], s[40:41], vcc
	s_and_saveexec_b64 s[2:3], s[4:5]
	s_cbranch_execz .LBB28_244
; %bb.242:
	v_and_b32_e32 v1, 1, v49
	v_cmp_eq_u32_e32 vcc, 1, v1
	s_and_b64 exec, exec, vcc
	s_cbranch_execz .LBB28_244
; %bb.243:
	v_mov_b32_e32 v17, 0
	v_lshl_add_u64 v[32:33], v[16:17], 2, s[0:1]
	global_store_dword v[32:33], v48, off
.LBB28_244:
	s_or_b64 exec, exec, s[2:3]
	s_branch .LBB28_197
.LBB28_245:
	v_cmp_eq_u32_e32 vcc, 1, v64
	s_and_saveexec_b64 s[0:1], vcc
	s_cbranch_execz .LBB28_247
; %bb.246:
	v_sub_u32_e32 v1, v2, v46
	v_lshlrev_b32_e32 v1, 2, v1
	ds_write_b32 v1, v30
.LBB28_247:
	s_or_b64 exec, exec, s[0:1]
	v_and_b32_e32 v1, 1, v62
	v_cmp_eq_u32_e32 vcc, 1, v1
	s_and_saveexec_b64 s[0:1], vcc
	s_cbranch_execz .LBB28_249
; %bb.248:
	v_sub_u32_e32 v1, v3, v46
	v_lshlrev_b32_e32 v1, 2, v1
	ds_write_b32 v1, v31
.LBB28_249:
	s_or_b64 exec, exec, s[0:1]
	v_and_b32_e32 v1, 1, v61
	;; [unrolled: 10-line block ×14, first 2 shown]
	v_cmp_eq_u32_e32 vcc, 1, v1
	s_and_saveexec_b64 s[0:1], vcc
	s_cbranch_execz .LBB28_275
; %bb.274:
	v_sub_u32_e32 v1, v16, v46
	v_lshlrev_b32_e32 v1, 2, v1
	ds_write_b32 v1, v48
.LBB28_275:
	s_or_b64 exec, exec, s[0:1]
	v_cmp_gt_u32_e32 vcc, s16, v0
	s_waitcnt lgkmcnt(0)
	s_barrier
	s_and_saveexec_b64 s[0:1], vcc
	s_cbranch_execz .LBB28_288
; %bb.276:
	s_lshl_b64 s[2:3], s[34:35], 2
	v_mov_b32_e32 v47, 0
	s_add_u32 s2, s6, s2
	s_addc_u32 s3, s7, s3
	v_lshlrev_b64 v[2:3], 2, v[46:47]
	v_lshl_add_u64 v[2:3], s[2:3], 0, v[2:3]
	v_xad_u32 v1, v0, -1, s16
	s_movk_i32 s2, 0x1ff
	v_cmp_lt_u32_e32 vcc, s2, v1
	s_mov_b64 s[4:5], -1
	v_mov_b32_e32 v4, v0
	s_and_saveexec_b64 s[2:3], vcc
	s_cbranch_execz .LBB28_285
; %bb.277:
	v_lshrrev_b32_e32 v8, 9, v1
	v_add_u32_e32 v4, -1, v8
	v_or_b32_e32 v1, 0x200, v0
	v_lshrrev_b32_e32 v5, 1, v4
	v_add_u32_e32 v10, 1, v5
	v_cmp_lt_u32_e32 vcc, 13, v4
	v_lshlrev_b32_e32 v9, 2, v0
	v_mov_b64_e32 v[4:5], v[0:1]
	s_and_saveexec_b64 s[4:5], vcc
	s_cbranch_execz .LBB28_281
; %bb.278:
	v_and_b32_e32 v11, -8, v10
	s_mov_b32 s8, 0
	s_mov_b64 s[6:7], 0
	v_mov_b32_e32 v7, 0
	v_mov_b32_e32 v12, v9
	v_mov_b64_e32 v[4:5], v[0:1]
.LBB28_279:                             ; =>This Inner Loop Header: Depth=1
	ds_read2st64_b32 v[14:15], v12 offset1:8
	v_mov_b32_e32 v6, v4
	ds_read2st64_b32 v[26:27], v12 offset0:48 offset1:56
	v_lshl_add_u64 v[44:45], v[6:7], 2, v[2:3]
	v_mov_b32_e32 v6, v5
	ds_read2st64_b32 v[18:19], v12 offset0:16 offset1:24
	ds_read2st64_b32 v[30:31], v12 offset0:64 offset1:72
	v_lshl_add_u64 v[48:49], v[6:7], 2, v[2:3]
	v_add_u32_e32 v6, 0x400, v4
	ds_read2st64_b32 v[34:35], v12 offset0:80 offset1:88
	v_lshl_add_u64 v[50:51], v[6:7], 2, v[2:3]
	v_add_u32_e32 v6, 0x800, v4
	v_add_u32_e32 v16, 0x400, v5
	v_mov_b32_e32 v17, v7
	v_add_u32_e32 v20, 0x800, v5
	ds_read2st64_b32 v[22:23], v12 offset0:32 offset1:40
	v_mov_b32_e32 v21, v7
	ds_read2st64_b32 v[38:39], v12 offset0:96 offset1:104
	v_lshl_add_u64 v[52:53], v[6:7], 2, v[2:3]
	v_add_u32_e32 v6, 0xc00, v4
	v_add_u32_e32 v24, 0xc00, v5
	v_mov_b32_e32 v25, v7
	ds_read2st64_b32 v[42:43], v12 offset0:112 offset1:120
	v_lshl_add_u64 v[16:17], v[16:17], 2, v[2:3]
	v_lshl_add_u64 v[20:21], v[20:21], 2, v[2:3]
	s_waitcnt lgkmcnt(7)
	global_store_dword v[44:45], v14, off
	global_store_dword v[48:49], v15, off
	s_waitcnt lgkmcnt(5)
	global_store_dword v[50:51], v18, off
	global_store_dword v[16:17], v19, off
	;; [unrolled: 3-line block ×3, first 2 shown]
	v_lshl_add_u64 v[14:15], v[6:7], 2, v[2:3]
	v_add_u32_e32 v6, 0x1000, v4
	v_add_u32_e32 v28, 0x1000, v5
	v_mov_b32_e32 v29, v7
	v_lshl_add_u64 v[24:25], v[24:25], 2, v[2:3]
	global_store_dword v[14:15], v26, off
	global_store_dword v[24:25], v27, off
	v_lshl_add_u64 v[14:15], v[6:7], 2, v[2:3]
	v_add_u32_e32 v6, 0x1400, v4
	v_add_u32_e32 v32, 0x1400, v5
	v_mov_b32_e32 v33, v7
	v_add_u32_e32 v11, -8, v11
	v_lshl_add_u64 v[28:29], v[28:29], 2, v[2:3]
	global_store_dword v[14:15], v30, off
	global_store_dword v[28:29], v31, off
	v_lshl_add_u64 v[14:15], v[6:7], 2, v[2:3]
	v_add_u32_e32 v6, 0x1800, v4
	v_add_u32_e32 v36, 0x1800, v5
	v_mov_b32_e32 v37, v7
	s_add_i32 s8, s8, 16
	v_lshl_add_u64 v[32:33], v[32:33], 2, v[2:3]
	v_cmp_eq_u32_e32 vcc, 0, v11
	global_store_dword v[14:15], v34, off
	global_store_dword v[32:33], v35, off
	v_lshl_add_u64 v[14:15], v[6:7], 2, v[2:3]
	v_add_u32_e32 v6, 0x1c00, v4
	v_add_u32_e32 v40, 0x1c00, v5
	v_mov_b32_e32 v41, v7
	v_add_u32_e32 v12, 0x8000, v12
	v_lshl_add_u64 v[36:37], v[36:37], 2, v[2:3]
	v_add_u32_e32 v5, 0x2000, v5
	v_mov_b32_e32 v47, s8
	s_or_b64 s[6:7], vcc, s[6:7]
	v_add_u32_e32 v4, 0x2000, v4
	s_waitcnt lgkmcnt(1)
	global_store_dword v[14:15], v38, off
	global_store_dword v[36:37], v39, off
	v_lshl_add_u64 v[14:15], v[6:7], 2, v[2:3]
	v_lshl_add_u64 v[40:41], v[40:41], 2, v[2:3]
	s_waitcnt lgkmcnt(0)
	global_store_dword v[14:15], v42, off
	global_store_dword v[40:41], v43, off
	s_andn2_b64 exec, exec, s[6:7]
	s_cbranch_execnz .LBB28_279
; %bb.280:
	s_or_b64 exec, exec, s[6:7]
.LBB28_281:
	s_or_b64 exec, exec, s[4:5]
	v_and_b32_e32 v1, 7, v10
	v_cmp_ne_u32_e32 vcc, 0, v1
	s_and_saveexec_b64 s[4:5], vcc
	s_cbranch_execz .LBB28_284
; %bb.282:
	v_lshl_or_b32 v9, v47, 11, v9
	s_mov_b64 s[6:7], 0
	v_mov_b32_e32 v7, 0
.LBB28_283:                             ; =>This Inner Loop Header: Depth=1
	ds_read2st64_b32 v[10:11], v9 offset1:8
	v_add_u32_e32 v1, -1, v1
	v_mov_b32_e32 v6, v4
	v_cmp_eq_u32_e32 vcc, 0, v1
	v_add_u32_e32 v4, 0x400, v4
	v_add_u32_e32 v9, 0x1000, v9
	v_lshl_add_u64 v[12:13], v[6:7], 2, v[2:3]
	v_mov_b32_e32 v6, v5
	v_add_u32_e32 v5, 0x400, v5
	s_or_b64 s[6:7], vcc, s[6:7]
	v_lshl_add_u64 v[14:15], v[6:7], 2, v[2:3]
	s_waitcnt lgkmcnt(0)
	global_store_dword v[12:13], v10, off
	global_store_dword v[14:15], v11, off
	s_andn2_b64 exec, exec, s[6:7]
	s_cbranch_execnz .LBB28_283
.LBB28_284:
	s_or_b64 exec, exec, s[4:5]
	v_add_u32_e32 v1, 1, v8
	v_and_b32_e32 v5, 0xfffffe, v1
	v_cmp_ne_u32_e32 vcc, v1, v5
	v_lshl_or_b32 v4, v5, 9, v0
	s_orn2_b64 s[4:5], vcc, exec
.LBB28_285:
	s_or_b64 exec, exec, s[2:3]
	s_and_b64 exec, exec, s[4:5]
	s_cbranch_execz .LBB28_288
; %bb.286:
	v_lshlrev_b32_e32 v1, 2, v4
	s_mov_b64 s[2:3], 0
	v_mov_b32_e32 v5, 0
.LBB28_287:                             ; =>This Inner Loop Header: Depth=1
	ds_read_b32 v8, v1
	v_lshl_add_u64 v[6:7], v[4:5], 2, v[2:3]
	v_add_u32_e32 v4, 0x200, v4
	v_cmp_le_u32_e32 vcc, s16, v4
	v_add_u32_e32 v1, 0x800, v1
	s_or_b64 s[2:3], vcc, s[2:3]
	s_waitcnt lgkmcnt(0)
	global_store_dword v[6:7], v8, off
	s_andn2_b64 exec, exec, s[2:3]
	s_cbranch_execnz .LBB28_287
.LBB28_288:
	s_or_b64 exec, exec, s[0:1]
	v_cmp_eq_u32_e32 vcc, 0, v0
	s_and_b64 s[0:1], vcc, s[38:39]
	s_and_saveexec_b64 s[2:3], s[0:1]
	s_cbranch_execz .LBB28_198
.LBB28_289:
	s_add_u32 s0, s34, s16
	v_mov_b32_e32 v47, 0
	s_addc_u32 s1, s35, 0
	v_lshl_add_u64 v[0:1], s[0:1], 0, v[46:47]
	global_store_dwordx2 v47, v[0:1], s[36:37]
	s_endpgm
	.section	.rodata,"a",@progbits
	.p2align	6, 0x0
	.amdhsa_kernel _ZN7rocprim17ROCPRIM_400000_NS6detail17trampoline_kernelINS0_14default_configENS1_25partition_config_selectorILNS1_17partition_subalgoE9EiibEEZZNS1_14partition_implILS5_9ELb0ES3_jPKiN6thrust23THRUST_200600_302600_NS17counting_iteratorIiNSB_11use_defaultESD_SD_EEPNS0_10empty_typeENS0_5tupleIJPiSF_EEENSH_IJSI_SG_EEENS0_18inequality_wrapperIN6hipcub16HIPCUB_304000_NS8EqualityEEEPlJSF_EEE10hipError_tPvRmT3_T4_T5_T6_T7_T9_mT8_P12ihipStream_tbDpT10_ENKUlT_T0_E_clISt17integral_constantIbLb1EES19_IbLb0EEEEDaS15_S16_EUlS15_E_NS1_11comp_targetILNS1_3genE5ELNS1_11target_archE942ELNS1_3gpuE9ELNS1_3repE0EEENS1_30default_config_static_selectorELNS0_4arch9wavefront6targetE1EEEvT1_
		.amdhsa_group_segment_fixed_size 30728
		.amdhsa_private_segment_fixed_size 0
		.amdhsa_kernarg_size 112
		.amdhsa_user_sgpr_count 2
		.amdhsa_user_sgpr_dispatch_ptr 0
		.amdhsa_user_sgpr_queue_ptr 0
		.amdhsa_user_sgpr_kernarg_segment_ptr 1
		.amdhsa_user_sgpr_dispatch_id 0
		.amdhsa_user_sgpr_kernarg_preload_length 0
		.amdhsa_user_sgpr_kernarg_preload_offset 0
		.amdhsa_user_sgpr_private_segment_size 0
		.amdhsa_uses_dynamic_stack 0
		.amdhsa_enable_private_segment 0
		.amdhsa_system_sgpr_workgroup_id_x 1
		.amdhsa_system_sgpr_workgroup_id_y 0
		.amdhsa_system_sgpr_workgroup_id_z 0
		.amdhsa_system_sgpr_workgroup_info 0
		.amdhsa_system_vgpr_workitem_id 0
		.amdhsa_next_free_vgpr 100
		.amdhsa_next_free_sgpr 48
		.amdhsa_accum_offset 100
		.amdhsa_reserve_vcc 1
		.amdhsa_float_round_mode_32 0
		.amdhsa_float_round_mode_16_64 0
		.amdhsa_float_denorm_mode_32 3
		.amdhsa_float_denorm_mode_16_64 3
		.amdhsa_dx10_clamp 1
		.amdhsa_ieee_mode 1
		.amdhsa_fp16_overflow 0
		.amdhsa_tg_split 0
		.amdhsa_exception_fp_ieee_invalid_op 0
		.amdhsa_exception_fp_denorm_src 0
		.amdhsa_exception_fp_ieee_div_zero 0
		.amdhsa_exception_fp_ieee_overflow 0
		.amdhsa_exception_fp_ieee_underflow 0
		.amdhsa_exception_fp_ieee_inexact 0
		.amdhsa_exception_int_div_zero 0
	.end_amdhsa_kernel
	.section	.text._ZN7rocprim17ROCPRIM_400000_NS6detail17trampoline_kernelINS0_14default_configENS1_25partition_config_selectorILNS1_17partition_subalgoE9EiibEEZZNS1_14partition_implILS5_9ELb0ES3_jPKiN6thrust23THRUST_200600_302600_NS17counting_iteratorIiNSB_11use_defaultESD_SD_EEPNS0_10empty_typeENS0_5tupleIJPiSF_EEENSH_IJSI_SG_EEENS0_18inequality_wrapperIN6hipcub16HIPCUB_304000_NS8EqualityEEEPlJSF_EEE10hipError_tPvRmT3_T4_T5_T6_T7_T9_mT8_P12ihipStream_tbDpT10_ENKUlT_T0_E_clISt17integral_constantIbLb1EES19_IbLb0EEEEDaS15_S16_EUlS15_E_NS1_11comp_targetILNS1_3genE5ELNS1_11target_archE942ELNS1_3gpuE9ELNS1_3repE0EEENS1_30default_config_static_selectorELNS0_4arch9wavefront6targetE1EEEvT1_,"axG",@progbits,_ZN7rocprim17ROCPRIM_400000_NS6detail17trampoline_kernelINS0_14default_configENS1_25partition_config_selectorILNS1_17partition_subalgoE9EiibEEZZNS1_14partition_implILS5_9ELb0ES3_jPKiN6thrust23THRUST_200600_302600_NS17counting_iteratorIiNSB_11use_defaultESD_SD_EEPNS0_10empty_typeENS0_5tupleIJPiSF_EEENSH_IJSI_SG_EEENS0_18inequality_wrapperIN6hipcub16HIPCUB_304000_NS8EqualityEEEPlJSF_EEE10hipError_tPvRmT3_T4_T5_T6_T7_T9_mT8_P12ihipStream_tbDpT10_ENKUlT_T0_E_clISt17integral_constantIbLb1EES19_IbLb0EEEEDaS15_S16_EUlS15_E_NS1_11comp_targetILNS1_3genE5ELNS1_11target_archE942ELNS1_3gpuE9ELNS1_3repE0EEENS1_30default_config_static_selectorELNS0_4arch9wavefront6targetE1EEEvT1_,comdat
.Lfunc_end28:
	.size	_ZN7rocprim17ROCPRIM_400000_NS6detail17trampoline_kernelINS0_14default_configENS1_25partition_config_selectorILNS1_17partition_subalgoE9EiibEEZZNS1_14partition_implILS5_9ELb0ES3_jPKiN6thrust23THRUST_200600_302600_NS17counting_iteratorIiNSB_11use_defaultESD_SD_EEPNS0_10empty_typeENS0_5tupleIJPiSF_EEENSH_IJSI_SG_EEENS0_18inequality_wrapperIN6hipcub16HIPCUB_304000_NS8EqualityEEEPlJSF_EEE10hipError_tPvRmT3_T4_T5_T6_T7_T9_mT8_P12ihipStream_tbDpT10_ENKUlT_T0_E_clISt17integral_constantIbLb1EES19_IbLb0EEEEDaS15_S16_EUlS15_E_NS1_11comp_targetILNS1_3genE5ELNS1_11target_archE942ELNS1_3gpuE9ELNS1_3repE0EEENS1_30default_config_static_selectorELNS0_4arch9wavefront6targetE1EEEvT1_, .Lfunc_end28-_ZN7rocprim17ROCPRIM_400000_NS6detail17trampoline_kernelINS0_14default_configENS1_25partition_config_selectorILNS1_17partition_subalgoE9EiibEEZZNS1_14partition_implILS5_9ELb0ES3_jPKiN6thrust23THRUST_200600_302600_NS17counting_iteratorIiNSB_11use_defaultESD_SD_EEPNS0_10empty_typeENS0_5tupleIJPiSF_EEENSH_IJSI_SG_EEENS0_18inequality_wrapperIN6hipcub16HIPCUB_304000_NS8EqualityEEEPlJSF_EEE10hipError_tPvRmT3_T4_T5_T6_T7_T9_mT8_P12ihipStream_tbDpT10_ENKUlT_T0_E_clISt17integral_constantIbLb1EES19_IbLb0EEEEDaS15_S16_EUlS15_E_NS1_11comp_targetILNS1_3genE5ELNS1_11target_archE942ELNS1_3gpuE9ELNS1_3repE0EEENS1_30default_config_static_selectorELNS0_4arch9wavefront6targetE1EEEvT1_
                                        ; -- End function
	.section	.AMDGPU.csdata,"",@progbits
; Kernel info:
; codeLenInByte = 10800
; NumSgprs: 54
; NumVgprs: 100
; NumAgprs: 0
; TotalNumVgprs: 100
; ScratchSize: 0
; MemoryBound: 0
; FloatMode: 240
; IeeeMode: 1
; LDSByteSize: 30728 bytes/workgroup (compile time only)
; SGPRBlocks: 6
; VGPRBlocks: 12
; NumSGPRsForWavesPerEU: 54
; NumVGPRsForWavesPerEU: 100
; AccumOffset: 100
; Occupancy: 4
; WaveLimiterHint : 1
; COMPUTE_PGM_RSRC2:SCRATCH_EN: 0
; COMPUTE_PGM_RSRC2:USER_SGPR: 2
; COMPUTE_PGM_RSRC2:TRAP_HANDLER: 0
; COMPUTE_PGM_RSRC2:TGID_X_EN: 1
; COMPUTE_PGM_RSRC2:TGID_Y_EN: 0
; COMPUTE_PGM_RSRC2:TGID_Z_EN: 0
; COMPUTE_PGM_RSRC2:TIDIG_COMP_CNT: 0
; COMPUTE_PGM_RSRC3_GFX90A:ACCUM_OFFSET: 24
; COMPUTE_PGM_RSRC3_GFX90A:TG_SPLIT: 0
	.section	.text._ZN7rocprim17ROCPRIM_400000_NS6detail17trampoline_kernelINS0_14default_configENS1_25partition_config_selectorILNS1_17partition_subalgoE9EiibEEZZNS1_14partition_implILS5_9ELb0ES3_jPKiN6thrust23THRUST_200600_302600_NS17counting_iteratorIiNSB_11use_defaultESD_SD_EEPNS0_10empty_typeENS0_5tupleIJPiSF_EEENSH_IJSI_SG_EEENS0_18inequality_wrapperIN6hipcub16HIPCUB_304000_NS8EqualityEEEPlJSF_EEE10hipError_tPvRmT3_T4_T5_T6_T7_T9_mT8_P12ihipStream_tbDpT10_ENKUlT_T0_E_clISt17integral_constantIbLb1EES19_IbLb0EEEEDaS15_S16_EUlS15_E_NS1_11comp_targetILNS1_3genE4ELNS1_11target_archE910ELNS1_3gpuE8ELNS1_3repE0EEENS1_30default_config_static_selectorELNS0_4arch9wavefront6targetE1EEEvT1_,"axG",@progbits,_ZN7rocprim17ROCPRIM_400000_NS6detail17trampoline_kernelINS0_14default_configENS1_25partition_config_selectorILNS1_17partition_subalgoE9EiibEEZZNS1_14partition_implILS5_9ELb0ES3_jPKiN6thrust23THRUST_200600_302600_NS17counting_iteratorIiNSB_11use_defaultESD_SD_EEPNS0_10empty_typeENS0_5tupleIJPiSF_EEENSH_IJSI_SG_EEENS0_18inequality_wrapperIN6hipcub16HIPCUB_304000_NS8EqualityEEEPlJSF_EEE10hipError_tPvRmT3_T4_T5_T6_T7_T9_mT8_P12ihipStream_tbDpT10_ENKUlT_T0_E_clISt17integral_constantIbLb1EES19_IbLb0EEEEDaS15_S16_EUlS15_E_NS1_11comp_targetILNS1_3genE4ELNS1_11target_archE910ELNS1_3gpuE8ELNS1_3repE0EEENS1_30default_config_static_selectorELNS0_4arch9wavefront6targetE1EEEvT1_,comdat
	.protected	_ZN7rocprim17ROCPRIM_400000_NS6detail17trampoline_kernelINS0_14default_configENS1_25partition_config_selectorILNS1_17partition_subalgoE9EiibEEZZNS1_14partition_implILS5_9ELb0ES3_jPKiN6thrust23THRUST_200600_302600_NS17counting_iteratorIiNSB_11use_defaultESD_SD_EEPNS0_10empty_typeENS0_5tupleIJPiSF_EEENSH_IJSI_SG_EEENS0_18inequality_wrapperIN6hipcub16HIPCUB_304000_NS8EqualityEEEPlJSF_EEE10hipError_tPvRmT3_T4_T5_T6_T7_T9_mT8_P12ihipStream_tbDpT10_ENKUlT_T0_E_clISt17integral_constantIbLb1EES19_IbLb0EEEEDaS15_S16_EUlS15_E_NS1_11comp_targetILNS1_3genE4ELNS1_11target_archE910ELNS1_3gpuE8ELNS1_3repE0EEENS1_30default_config_static_selectorELNS0_4arch9wavefront6targetE1EEEvT1_ ; -- Begin function _ZN7rocprim17ROCPRIM_400000_NS6detail17trampoline_kernelINS0_14default_configENS1_25partition_config_selectorILNS1_17partition_subalgoE9EiibEEZZNS1_14partition_implILS5_9ELb0ES3_jPKiN6thrust23THRUST_200600_302600_NS17counting_iteratorIiNSB_11use_defaultESD_SD_EEPNS0_10empty_typeENS0_5tupleIJPiSF_EEENSH_IJSI_SG_EEENS0_18inequality_wrapperIN6hipcub16HIPCUB_304000_NS8EqualityEEEPlJSF_EEE10hipError_tPvRmT3_T4_T5_T6_T7_T9_mT8_P12ihipStream_tbDpT10_ENKUlT_T0_E_clISt17integral_constantIbLb1EES19_IbLb0EEEEDaS15_S16_EUlS15_E_NS1_11comp_targetILNS1_3genE4ELNS1_11target_archE910ELNS1_3gpuE8ELNS1_3repE0EEENS1_30default_config_static_selectorELNS0_4arch9wavefront6targetE1EEEvT1_
	.globl	_ZN7rocprim17ROCPRIM_400000_NS6detail17trampoline_kernelINS0_14default_configENS1_25partition_config_selectorILNS1_17partition_subalgoE9EiibEEZZNS1_14partition_implILS5_9ELb0ES3_jPKiN6thrust23THRUST_200600_302600_NS17counting_iteratorIiNSB_11use_defaultESD_SD_EEPNS0_10empty_typeENS0_5tupleIJPiSF_EEENSH_IJSI_SG_EEENS0_18inequality_wrapperIN6hipcub16HIPCUB_304000_NS8EqualityEEEPlJSF_EEE10hipError_tPvRmT3_T4_T5_T6_T7_T9_mT8_P12ihipStream_tbDpT10_ENKUlT_T0_E_clISt17integral_constantIbLb1EES19_IbLb0EEEEDaS15_S16_EUlS15_E_NS1_11comp_targetILNS1_3genE4ELNS1_11target_archE910ELNS1_3gpuE8ELNS1_3repE0EEENS1_30default_config_static_selectorELNS0_4arch9wavefront6targetE1EEEvT1_
	.p2align	8
	.type	_ZN7rocprim17ROCPRIM_400000_NS6detail17trampoline_kernelINS0_14default_configENS1_25partition_config_selectorILNS1_17partition_subalgoE9EiibEEZZNS1_14partition_implILS5_9ELb0ES3_jPKiN6thrust23THRUST_200600_302600_NS17counting_iteratorIiNSB_11use_defaultESD_SD_EEPNS0_10empty_typeENS0_5tupleIJPiSF_EEENSH_IJSI_SG_EEENS0_18inequality_wrapperIN6hipcub16HIPCUB_304000_NS8EqualityEEEPlJSF_EEE10hipError_tPvRmT3_T4_T5_T6_T7_T9_mT8_P12ihipStream_tbDpT10_ENKUlT_T0_E_clISt17integral_constantIbLb1EES19_IbLb0EEEEDaS15_S16_EUlS15_E_NS1_11comp_targetILNS1_3genE4ELNS1_11target_archE910ELNS1_3gpuE8ELNS1_3repE0EEENS1_30default_config_static_selectorELNS0_4arch9wavefront6targetE1EEEvT1_,@function
_ZN7rocprim17ROCPRIM_400000_NS6detail17trampoline_kernelINS0_14default_configENS1_25partition_config_selectorILNS1_17partition_subalgoE9EiibEEZZNS1_14partition_implILS5_9ELb0ES3_jPKiN6thrust23THRUST_200600_302600_NS17counting_iteratorIiNSB_11use_defaultESD_SD_EEPNS0_10empty_typeENS0_5tupleIJPiSF_EEENSH_IJSI_SG_EEENS0_18inequality_wrapperIN6hipcub16HIPCUB_304000_NS8EqualityEEEPlJSF_EEE10hipError_tPvRmT3_T4_T5_T6_T7_T9_mT8_P12ihipStream_tbDpT10_ENKUlT_T0_E_clISt17integral_constantIbLb1EES19_IbLb0EEEEDaS15_S16_EUlS15_E_NS1_11comp_targetILNS1_3genE4ELNS1_11target_archE910ELNS1_3gpuE8ELNS1_3repE0EEENS1_30default_config_static_selectorELNS0_4arch9wavefront6targetE1EEEvT1_: ; @_ZN7rocprim17ROCPRIM_400000_NS6detail17trampoline_kernelINS0_14default_configENS1_25partition_config_selectorILNS1_17partition_subalgoE9EiibEEZZNS1_14partition_implILS5_9ELb0ES3_jPKiN6thrust23THRUST_200600_302600_NS17counting_iteratorIiNSB_11use_defaultESD_SD_EEPNS0_10empty_typeENS0_5tupleIJPiSF_EEENSH_IJSI_SG_EEENS0_18inequality_wrapperIN6hipcub16HIPCUB_304000_NS8EqualityEEEPlJSF_EEE10hipError_tPvRmT3_T4_T5_T6_T7_T9_mT8_P12ihipStream_tbDpT10_ENKUlT_T0_E_clISt17integral_constantIbLb1EES19_IbLb0EEEEDaS15_S16_EUlS15_E_NS1_11comp_targetILNS1_3genE4ELNS1_11target_archE910ELNS1_3gpuE8ELNS1_3repE0EEENS1_30default_config_static_selectorELNS0_4arch9wavefront6targetE1EEEvT1_
; %bb.0:
	.section	.rodata,"a",@progbits
	.p2align	6, 0x0
	.amdhsa_kernel _ZN7rocprim17ROCPRIM_400000_NS6detail17trampoline_kernelINS0_14default_configENS1_25partition_config_selectorILNS1_17partition_subalgoE9EiibEEZZNS1_14partition_implILS5_9ELb0ES3_jPKiN6thrust23THRUST_200600_302600_NS17counting_iteratorIiNSB_11use_defaultESD_SD_EEPNS0_10empty_typeENS0_5tupleIJPiSF_EEENSH_IJSI_SG_EEENS0_18inequality_wrapperIN6hipcub16HIPCUB_304000_NS8EqualityEEEPlJSF_EEE10hipError_tPvRmT3_T4_T5_T6_T7_T9_mT8_P12ihipStream_tbDpT10_ENKUlT_T0_E_clISt17integral_constantIbLb1EES19_IbLb0EEEEDaS15_S16_EUlS15_E_NS1_11comp_targetILNS1_3genE4ELNS1_11target_archE910ELNS1_3gpuE8ELNS1_3repE0EEENS1_30default_config_static_selectorELNS0_4arch9wavefront6targetE1EEEvT1_
		.amdhsa_group_segment_fixed_size 0
		.amdhsa_private_segment_fixed_size 0
		.amdhsa_kernarg_size 112
		.amdhsa_user_sgpr_count 2
		.amdhsa_user_sgpr_dispatch_ptr 0
		.amdhsa_user_sgpr_queue_ptr 0
		.amdhsa_user_sgpr_kernarg_segment_ptr 1
		.amdhsa_user_sgpr_dispatch_id 0
		.amdhsa_user_sgpr_kernarg_preload_length 0
		.amdhsa_user_sgpr_kernarg_preload_offset 0
		.amdhsa_user_sgpr_private_segment_size 0
		.amdhsa_uses_dynamic_stack 0
		.amdhsa_enable_private_segment 0
		.amdhsa_system_sgpr_workgroup_id_x 1
		.amdhsa_system_sgpr_workgroup_id_y 0
		.amdhsa_system_sgpr_workgroup_id_z 0
		.amdhsa_system_sgpr_workgroup_info 0
		.amdhsa_system_vgpr_workitem_id 0
		.amdhsa_next_free_vgpr 1
		.amdhsa_next_free_sgpr 0
		.amdhsa_accum_offset 4
		.amdhsa_reserve_vcc 0
		.amdhsa_float_round_mode_32 0
		.amdhsa_float_round_mode_16_64 0
		.amdhsa_float_denorm_mode_32 3
		.amdhsa_float_denorm_mode_16_64 3
		.amdhsa_dx10_clamp 1
		.amdhsa_ieee_mode 1
		.amdhsa_fp16_overflow 0
		.amdhsa_tg_split 0
		.amdhsa_exception_fp_ieee_invalid_op 0
		.amdhsa_exception_fp_denorm_src 0
		.amdhsa_exception_fp_ieee_div_zero 0
		.amdhsa_exception_fp_ieee_overflow 0
		.amdhsa_exception_fp_ieee_underflow 0
		.amdhsa_exception_fp_ieee_inexact 0
		.amdhsa_exception_int_div_zero 0
	.end_amdhsa_kernel
	.section	.text._ZN7rocprim17ROCPRIM_400000_NS6detail17trampoline_kernelINS0_14default_configENS1_25partition_config_selectorILNS1_17partition_subalgoE9EiibEEZZNS1_14partition_implILS5_9ELb0ES3_jPKiN6thrust23THRUST_200600_302600_NS17counting_iteratorIiNSB_11use_defaultESD_SD_EEPNS0_10empty_typeENS0_5tupleIJPiSF_EEENSH_IJSI_SG_EEENS0_18inequality_wrapperIN6hipcub16HIPCUB_304000_NS8EqualityEEEPlJSF_EEE10hipError_tPvRmT3_T4_T5_T6_T7_T9_mT8_P12ihipStream_tbDpT10_ENKUlT_T0_E_clISt17integral_constantIbLb1EES19_IbLb0EEEEDaS15_S16_EUlS15_E_NS1_11comp_targetILNS1_3genE4ELNS1_11target_archE910ELNS1_3gpuE8ELNS1_3repE0EEENS1_30default_config_static_selectorELNS0_4arch9wavefront6targetE1EEEvT1_,"axG",@progbits,_ZN7rocprim17ROCPRIM_400000_NS6detail17trampoline_kernelINS0_14default_configENS1_25partition_config_selectorILNS1_17partition_subalgoE9EiibEEZZNS1_14partition_implILS5_9ELb0ES3_jPKiN6thrust23THRUST_200600_302600_NS17counting_iteratorIiNSB_11use_defaultESD_SD_EEPNS0_10empty_typeENS0_5tupleIJPiSF_EEENSH_IJSI_SG_EEENS0_18inequality_wrapperIN6hipcub16HIPCUB_304000_NS8EqualityEEEPlJSF_EEE10hipError_tPvRmT3_T4_T5_T6_T7_T9_mT8_P12ihipStream_tbDpT10_ENKUlT_T0_E_clISt17integral_constantIbLb1EES19_IbLb0EEEEDaS15_S16_EUlS15_E_NS1_11comp_targetILNS1_3genE4ELNS1_11target_archE910ELNS1_3gpuE8ELNS1_3repE0EEENS1_30default_config_static_selectorELNS0_4arch9wavefront6targetE1EEEvT1_,comdat
.Lfunc_end29:
	.size	_ZN7rocprim17ROCPRIM_400000_NS6detail17trampoline_kernelINS0_14default_configENS1_25partition_config_selectorILNS1_17partition_subalgoE9EiibEEZZNS1_14partition_implILS5_9ELb0ES3_jPKiN6thrust23THRUST_200600_302600_NS17counting_iteratorIiNSB_11use_defaultESD_SD_EEPNS0_10empty_typeENS0_5tupleIJPiSF_EEENSH_IJSI_SG_EEENS0_18inequality_wrapperIN6hipcub16HIPCUB_304000_NS8EqualityEEEPlJSF_EEE10hipError_tPvRmT3_T4_T5_T6_T7_T9_mT8_P12ihipStream_tbDpT10_ENKUlT_T0_E_clISt17integral_constantIbLb1EES19_IbLb0EEEEDaS15_S16_EUlS15_E_NS1_11comp_targetILNS1_3genE4ELNS1_11target_archE910ELNS1_3gpuE8ELNS1_3repE0EEENS1_30default_config_static_selectorELNS0_4arch9wavefront6targetE1EEEvT1_, .Lfunc_end29-_ZN7rocprim17ROCPRIM_400000_NS6detail17trampoline_kernelINS0_14default_configENS1_25partition_config_selectorILNS1_17partition_subalgoE9EiibEEZZNS1_14partition_implILS5_9ELb0ES3_jPKiN6thrust23THRUST_200600_302600_NS17counting_iteratorIiNSB_11use_defaultESD_SD_EEPNS0_10empty_typeENS0_5tupleIJPiSF_EEENSH_IJSI_SG_EEENS0_18inequality_wrapperIN6hipcub16HIPCUB_304000_NS8EqualityEEEPlJSF_EEE10hipError_tPvRmT3_T4_T5_T6_T7_T9_mT8_P12ihipStream_tbDpT10_ENKUlT_T0_E_clISt17integral_constantIbLb1EES19_IbLb0EEEEDaS15_S16_EUlS15_E_NS1_11comp_targetILNS1_3genE4ELNS1_11target_archE910ELNS1_3gpuE8ELNS1_3repE0EEENS1_30default_config_static_selectorELNS0_4arch9wavefront6targetE1EEEvT1_
                                        ; -- End function
	.section	.AMDGPU.csdata,"",@progbits
; Kernel info:
; codeLenInByte = 0
; NumSgprs: 6
; NumVgprs: 0
; NumAgprs: 0
; TotalNumVgprs: 0
; ScratchSize: 0
; MemoryBound: 0
; FloatMode: 240
; IeeeMode: 1
; LDSByteSize: 0 bytes/workgroup (compile time only)
; SGPRBlocks: 0
; VGPRBlocks: 0
; NumSGPRsForWavesPerEU: 6
; NumVGPRsForWavesPerEU: 1
; AccumOffset: 4
; Occupancy: 8
; WaveLimiterHint : 0
; COMPUTE_PGM_RSRC2:SCRATCH_EN: 0
; COMPUTE_PGM_RSRC2:USER_SGPR: 2
; COMPUTE_PGM_RSRC2:TRAP_HANDLER: 0
; COMPUTE_PGM_RSRC2:TGID_X_EN: 1
; COMPUTE_PGM_RSRC2:TGID_Y_EN: 0
; COMPUTE_PGM_RSRC2:TGID_Z_EN: 0
; COMPUTE_PGM_RSRC2:TIDIG_COMP_CNT: 0
; COMPUTE_PGM_RSRC3_GFX90A:ACCUM_OFFSET: 0
; COMPUTE_PGM_RSRC3_GFX90A:TG_SPLIT: 0
	.section	.text._ZN7rocprim17ROCPRIM_400000_NS6detail17trampoline_kernelINS0_14default_configENS1_25partition_config_selectorILNS1_17partition_subalgoE9EiibEEZZNS1_14partition_implILS5_9ELb0ES3_jPKiN6thrust23THRUST_200600_302600_NS17counting_iteratorIiNSB_11use_defaultESD_SD_EEPNS0_10empty_typeENS0_5tupleIJPiSF_EEENSH_IJSI_SG_EEENS0_18inequality_wrapperIN6hipcub16HIPCUB_304000_NS8EqualityEEEPlJSF_EEE10hipError_tPvRmT3_T4_T5_T6_T7_T9_mT8_P12ihipStream_tbDpT10_ENKUlT_T0_E_clISt17integral_constantIbLb1EES19_IbLb0EEEEDaS15_S16_EUlS15_E_NS1_11comp_targetILNS1_3genE3ELNS1_11target_archE908ELNS1_3gpuE7ELNS1_3repE0EEENS1_30default_config_static_selectorELNS0_4arch9wavefront6targetE1EEEvT1_,"axG",@progbits,_ZN7rocprim17ROCPRIM_400000_NS6detail17trampoline_kernelINS0_14default_configENS1_25partition_config_selectorILNS1_17partition_subalgoE9EiibEEZZNS1_14partition_implILS5_9ELb0ES3_jPKiN6thrust23THRUST_200600_302600_NS17counting_iteratorIiNSB_11use_defaultESD_SD_EEPNS0_10empty_typeENS0_5tupleIJPiSF_EEENSH_IJSI_SG_EEENS0_18inequality_wrapperIN6hipcub16HIPCUB_304000_NS8EqualityEEEPlJSF_EEE10hipError_tPvRmT3_T4_T5_T6_T7_T9_mT8_P12ihipStream_tbDpT10_ENKUlT_T0_E_clISt17integral_constantIbLb1EES19_IbLb0EEEEDaS15_S16_EUlS15_E_NS1_11comp_targetILNS1_3genE3ELNS1_11target_archE908ELNS1_3gpuE7ELNS1_3repE0EEENS1_30default_config_static_selectorELNS0_4arch9wavefront6targetE1EEEvT1_,comdat
	.protected	_ZN7rocprim17ROCPRIM_400000_NS6detail17trampoline_kernelINS0_14default_configENS1_25partition_config_selectorILNS1_17partition_subalgoE9EiibEEZZNS1_14partition_implILS5_9ELb0ES3_jPKiN6thrust23THRUST_200600_302600_NS17counting_iteratorIiNSB_11use_defaultESD_SD_EEPNS0_10empty_typeENS0_5tupleIJPiSF_EEENSH_IJSI_SG_EEENS0_18inequality_wrapperIN6hipcub16HIPCUB_304000_NS8EqualityEEEPlJSF_EEE10hipError_tPvRmT3_T4_T5_T6_T7_T9_mT8_P12ihipStream_tbDpT10_ENKUlT_T0_E_clISt17integral_constantIbLb1EES19_IbLb0EEEEDaS15_S16_EUlS15_E_NS1_11comp_targetILNS1_3genE3ELNS1_11target_archE908ELNS1_3gpuE7ELNS1_3repE0EEENS1_30default_config_static_selectorELNS0_4arch9wavefront6targetE1EEEvT1_ ; -- Begin function _ZN7rocprim17ROCPRIM_400000_NS6detail17trampoline_kernelINS0_14default_configENS1_25partition_config_selectorILNS1_17partition_subalgoE9EiibEEZZNS1_14partition_implILS5_9ELb0ES3_jPKiN6thrust23THRUST_200600_302600_NS17counting_iteratorIiNSB_11use_defaultESD_SD_EEPNS0_10empty_typeENS0_5tupleIJPiSF_EEENSH_IJSI_SG_EEENS0_18inequality_wrapperIN6hipcub16HIPCUB_304000_NS8EqualityEEEPlJSF_EEE10hipError_tPvRmT3_T4_T5_T6_T7_T9_mT8_P12ihipStream_tbDpT10_ENKUlT_T0_E_clISt17integral_constantIbLb1EES19_IbLb0EEEEDaS15_S16_EUlS15_E_NS1_11comp_targetILNS1_3genE3ELNS1_11target_archE908ELNS1_3gpuE7ELNS1_3repE0EEENS1_30default_config_static_selectorELNS0_4arch9wavefront6targetE1EEEvT1_
	.globl	_ZN7rocprim17ROCPRIM_400000_NS6detail17trampoline_kernelINS0_14default_configENS1_25partition_config_selectorILNS1_17partition_subalgoE9EiibEEZZNS1_14partition_implILS5_9ELb0ES3_jPKiN6thrust23THRUST_200600_302600_NS17counting_iteratorIiNSB_11use_defaultESD_SD_EEPNS0_10empty_typeENS0_5tupleIJPiSF_EEENSH_IJSI_SG_EEENS0_18inequality_wrapperIN6hipcub16HIPCUB_304000_NS8EqualityEEEPlJSF_EEE10hipError_tPvRmT3_T4_T5_T6_T7_T9_mT8_P12ihipStream_tbDpT10_ENKUlT_T0_E_clISt17integral_constantIbLb1EES19_IbLb0EEEEDaS15_S16_EUlS15_E_NS1_11comp_targetILNS1_3genE3ELNS1_11target_archE908ELNS1_3gpuE7ELNS1_3repE0EEENS1_30default_config_static_selectorELNS0_4arch9wavefront6targetE1EEEvT1_
	.p2align	8
	.type	_ZN7rocprim17ROCPRIM_400000_NS6detail17trampoline_kernelINS0_14default_configENS1_25partition_config_selectorILNS1_17partition_subalgoE9EiibEEZZNS1_14partition_implILS5_9ELb0ES3_jPKiN6thrust23THRUST_200600_302600_NS17counting_iteratorIiNSB_11use_defaultESD_SD_EEPNS0_10empty_typeENS0_5tupleIJPiSF_EEENSH_IJSI_SG_EEENS0_18inequality_wrapperIN6hipcub16HIPCUB_304000_NS8EqualityEEEPlJSF_EEE10hipError_tPvRmT3_T4_T5_T6_T7_T9_mT8_P12ihipStream_tbDpT10_ENKUlT_T0_E_clISt17integral_constantIbLb1EES19_IbLb0EEEEDaS15_S16_EUlS15_E_NS1_11comp_targetILNS1_3genE3ELNS1_11target_archE908ELNS1_3gpuE7ELNS1_3repE0EEENS1_30default_config_static_selectorELNS0_4arch9wavefront6targetE1EEEvT1_,@function
_ZN7rocprim17ROCPRIM_400000_NS6detail17trampoline_kernelINS0_14default_configENS1_25partition_config_selectorILNS1_17partition_subalgoE9EiibEEZZNS1_14partition_implILS5_9ELb0ES3_jPKiN6thrust23THRUST_200600_302600_NS17counting_iteratorIiNSB_11use_defaultESD_SD_EEPNS0_10empty_typeENS0_5tupleIJPiSF_EEENSH_IJSI_SG_EEENS0_18inequality_wrapperIN6hipcub16HIPCUB_304000_NS8EqualityEEEPlJSF_EEE10hipError_tPvRmT3_T4_T5_T6_T7_T9_mT8_P12ihipStream_tbDpT10_ENKUlT_T0_E_clISt17integral_constantIbLb1EES19_IbLb0EEEEDaS15_S16_EUlS15_E_NS1_11comp_targetILNS1_3genE3ELNS1_11target_archE908ELNS1_3gpuE7ELNS1_3repE0EEENS1_30default_config_static_selectorELNS0_4arch9wavefront6targetE1EEEvT1_: ; @_ZN7rocprim17ROCPRIM_400000_NS6detail17trampoline_kernelINS0_14default_configENS1_25partition_config_selectorILNS1_17partition_subalgoE9EiibEEZZNS1_14partition_implILS5_9ELb0ES3_jPKiN6thrust23THRUST_200600_302600_NS17counting_iteratorIiNSB_11use_defaultESD_SD_EEPNS0_10empty_typeENS0_5tupleIJPiSF_EEENSH_IJSI_SG_EEENS0_18inequality_wrapperIN6hipcub16HIPCUB_304000_NS8EqualityEEEPlJSF_EEE10hipError_tPvRmT3_T4_T5_T6_T7_T9_mT8_P12ihipStream_tbDpT10_ENKUlT_T0_E_clISt17integral_constantIbLb1EES19_IbLb0EEEEDaS15_S16_EUlS15_E_NS1_11comp_targetILNS1_3genE3ELNS1_11target_archE908ELNS1_3gpuE7ELNS1_3repE0EEENS1_30default_config_static_selectorELNS0_4arch9wavefront6targetE1EEEvT1_
; %bb.0:
	.section	.rodata,"a",@progbits
	.p2align	6, 0x0
	.amdhsa_kernel _ZN7rocprim17ROCPRIM_400000_NS6detail17trampoline_kernelINS0_14default_configENS1_25partition_config_selectorILNS1_17partition_subalgoE9EiibEEZZNS1_14partition_implILS5_9ELb0ES3_jPKiN6thrust23THRUST_200600_302600_NS17counting_iteratorIiNSB_11use_defaultESD_SD_EEPNS0_10empty_typeENS0_5tupleIJPiSF_EEENSH_IJSI_SG_EEENS0_18inequality_wrapperIN6hipcub16HIPCUB_304000_NS8EqualityEEEPlJSF_EEE10hipError_tPvRmT3_T4_T5_T6_T7_T9_mT8_P12ihipStream_tbDpT10_ENKUlT_T0_E_clISt17integral_constantIbLb1EES19_IbLb0EEEEDaS15_S16_EUlS15_E_NS1_11comp_targetILNS1_3genE3ELNS1_11target_archE908ELNS1_3gpuE7ELNS1_3repE0EEENS1_30default_config_static_selectorELNS0_4arch9wavefront6targetE1EEEvT1_
		.amdhsa_group_segment_fixed_size 0
		.amdhsa_private_segment_fixed_size 0
		.amdhsa_kernarg_size 112
		.amdhsa_user_sgpr_count 2
		.amdhsa_user_sgpr_dispatch_ptr 0
		.amdhsa_user_sgpr_queue_ptr 0
		.amdhsa_user_sgpr_kernarg_segment_ptr 1
		.amdhsa_user_sgpr_dispatch_id 0
		.amdhsa_user_sgpr_kernarg_preload_length 0
		.amdhsa_user_sgpr_kernarg_preload_offset 0
		.amdhsa_user_sgpr_private_segment_size 0
		.amdhsa_uses_dynamic_stack 0
		.amdhsa_enable_private_segment 0
		.amdhsa_system_sgpr_workgroup_id_x 1
		.amdhsa_system_sgpr_workgroup_id_y 0
		.amdhsa_system_sgpr_workgroup_id_z 0
		.amdhsa_system_sgpr_workgroup_info 0
		.amdhsa_system_vgpr_workitem_id 0
		.amdhsa_next_free_vgpr 1
		.amdhsa_next_free_sgpr 0
		.amdhsa_accum_offset 4
		.amdhsa_reserve_vcc 0
		.amdhsa_float_round_mode_32 0
		.amdhsa_float_round_mode_16_64 0
		.amdhsa_float_denorm_mode_32 3
		.amdhsa_float_denorm_mode_16_64 3
		.amdhsa_dx10_clamp 1
		.amdhsa_ieee_mode 1
		.amdhsa_fp16_overflow 0
		.amdhsa_tg_split 0
		.amdhsa_exception_fp_ieee_invalid_op 0
		.amdhsa_exception_fp_denorm_src 0
		.amdhsa_exception_fp_ieee_div_zero 0
		.amdhsa_exception_fp_ieee_overflow 0
		.amdhsa_exception_fp_ieee_underflow 0
		.amdhsa_exception_fp_ieee_inexact 0
		.amdhsa_exception_int_div_zero 0
	.end_amdhsa_kernel
	.section	.text._ZN7rocprim17ROCPRIM_400000_NS6detail17trampoline_kernelINS0_14default_configENS1_25partition_config_selectorILNS1_17partition_subalgoE9EiibEEZZNS1_14partition_implILS5_9ELb0ES3_jPKiN6thrust23THRUST_200600_302600_NS17counting_iteratorIiNSB_11use_defaultESD_SD_EEPNS0_10empty_typeENS0_5tupleIJPiSF_EEENSH_IJSI_SG_EEENS0_18inequality_wrapperIN6hipcub16HIPCUB_304000_NS8EqualityEEEPlJSF_EEE10hipError_tPvRmT3_T4_T5_T6_T7_T9_mT8_P12ihipStream_tbDpT10_ENKUlT_T0_E_clISt17integral_constantIbLb1EES19_IbLb0EEEEDaS15_S16_EUlS15_E_NS1_11comp_targetILNS1_3genE3ELNS1_11target_archE908ELNS1_3gpuE7ELNS1_3repE0EEENS1_30default_config_static_selectorELNS0_4arch9wavefront6targetE1EEEvT1_,"axG",@progbits,_ZN7rocprim17ROCPRIM_400000_NS6detail17trampoline_kernelINS0_14default_configENS1_25partition_config_selectorILNS1_17partition_subalgoE9EiibEEZZNS1_14partition_implILS5_9ELb0ES3_jPKiN6thrust23THRUST_200600_302600_NS17counting_iteratorIiNSB_11use_defaultESD_SD_EEPNS0_10empty_typeENS0_5tupleIJPiSF_EEENSH_IJSI_SG_EEENS0_18inequality_wrapperIN6hipcub16HIPCUB_304000_NS8EqualityEEEPlJSF_EEE10hipError_tPvRmT3_T4_T5_T6_T7_T9_mT8_P12ihipStream_tbDpT10_ENKUlT_T0_E_clISt17integral_constantIbLb1EES19_IbLb0EEEEDaS15_S16_EUlS15_E_NS1_11comp_targetILNS1_3genE3ELNS1_11target_archE908ELNS1_3gpuE7ELNS1_3repE0EEENS1_30default_config_static_selectorELNS0_4arch9wavefront6targetE1EEEvT1_,comdat
.Lfunc_end30:
	.size	_ZN7rocprim17ROCPRIM_400000_NS6detail17trampoline_kernelINS0_14default_configENS1_25partition_config_selectorILNS1_17partition_subalgoE9EiibEEZZNS1_14partition_implILS5_9ELb0ES3_jPKiN6thrust23THRUST_200600_302600_NS17counting_iteratorIiNSB_11use_defaultESD_SD_EEPNS0_10empty_typeENS0_5tupleIJPiSF_EEENSH_IJSI_SG_EEENS0_18inequality_wrapperIN6hipcub16HIPCUB_304000_NS8EqualityEEEPlJSF_EEE10hipError_tPvRmT3_T4_T5_T6_T7_T9_mT8_P12ihipStream_tbDpT10_ENKUlT_T0_E_clISt17integral_constantIbLb1EES19_IbLb0EEEEDaS15_S16_EUlS15_E_NS1_11comp_targetILNS1_3genE3ELNS1_11target_archE908ELNS1_3gpuE7ELNS1_3repE0EEENS1_30default_config_static_selectorELNS0_4arch9wavefront6targetE1EEEvT1_, .Lfunc_end30-_ZN7rocprim17ROCPRIM_400000_NS6detail17trampoline_kernelINS0_14default_configENS1_25partition_config_selectorILNS1_17partition_subalgoE9EiibEEZZNS1_14partition_implILS5_9ELb0ES3_jPKiN6thrust23THRUST_200600_302600_NS17counting_iteratorIiNSB_11use_defaultESD_SD_EEPNS0_10empty_typeENS0_5tupleIJPiSF_EEENSH_IJSI_SG_EEENS0_18inequality_wrapperIN6hipcub16HIPCUB_304000_NS8EqualityEEEPlJSF_EEE10hipError_tPvRmT3_T4_T5_T6_T7_T9_mT8_P12ihipStream_tbDpT10_ENKUlT_T0_E_clISt17integral_constantIbLb1EES19_IbLb0EEEEDaS15_S16_EUlS15_E_NS1_11comp_targetILNS1_3genE3ELNS1_11target_archE908ELNS1_3gpuE7ELNS1_3repE0EEENS1_30default_config_static_selectorELNS0_4arch9wavefront6targetE1EEEvT1_
                                        ; -- End function
	.section	.AMDGPU.csdata,"",@progbits
; Kernel info:
; codeLenInByte = 0
; NumSgprs: 6
; NumVgprs: 0
; NumAgprs: 0
; TotalNumVgprs: 0
; ScratchSize: 0
; MemoryBound: 0
; FloatMode: 240
; IeeeMode: 1
; LDSByteSize: 0 bytes/workgroup (compile time only)
; SGPRBlocks: 0
; VGPRBlocks: 0
; NumSGPRsForWavesPerEU: 6
; NumVGPRsForWavesPerEU: 1
; AccumOffset: 4
; Occupancy: 8
; WaveLimiterHint : 0
; COMPUTE_PGM_RSRC2:SCRATCH_EN: 0
; COMPUTE_PGM_RSRC2:USER_SGPR: 2
; COMPUTE_PGM_RSRC2:TRAP_HANDLER: 0
; COMPUTE_PGM_RSRC2:TGID_X_EN: 1
; COMPUTE_PGM_RSRC2:TGID_Y_EN: 0
; COMPUTE_PGM_RSRC2:TGID_Z_EN: 0
; COMPUTE_PGM_RSRC2:TIDIG_COMP_CNT: 0
; COMPUTE_PGM_RSRC3_GFX90A:ACCUM_OFFSET: 0
; COMPUTE_PGM_RSRC3_GFX90A:TG_SPLIT: 0
	.section	.text._ZN7rocprim17ROCPRIM_400000_NS6detail17trampoline_kernelINS0_14default_configENS1_25partition_config_selectorILNS1_17partition_subalgoE9EiibEEZZNS1_14partition_implILS5_9ELb0ES3_jPKiN6thrust23THRUST_200600_302600_NS17counting_iteratorIiNSB_11use_defaultESD_SD_EEPNS0_10empty_typeENS0_5tupleIJPiSF_EEENSH_IJSI_SG_EEENS0_18inequality_wrapperIN6hipcub16HIPCUB_304000_NS8EqualityEEEPlJSF_EEE10hipError_tPvRmT3_T4_T5_T6_T7_T9_mT8_P12ihipStream_tbDpT10_ENKUlT_T0_E_clISt17integral_constantIbLb1EES19_IbLb0EEEEDaS15_S16_EUlS15_E_NS1_11comp_targetILNS1_3genE2ELNS1_11target_archE906ELNS1_3gpuE6ELNS1_3repE0EEENS1_30default_config_static_selectorELNS0_4arch9wavefront6targetE1EEEvT1_,"axG",@progbits,_ZN7rocprim17ROCPRIM_400000_NS6detail17trampoline_kernelINS0_14default_configENS1_25partition_config_selectorILNS1_17partition_subalgoE9EiibEEZZNS1_14partition_implILS5_9ELb0ES3_jPKiN6thrust23THRUST_200600_302600_NS17counting_iteratorIiNSB_11use_defaultESD_SD_EEPNS0_10empty_typeENS0_5tupleIJPiSF_EEENSH_IJSI_SG_EEENS0_18inequality_wrapperIN6hipcub16HIPCUB_304000_NS8EqualityEEEPlJSF_EEE10hipError_tPvRmT3_T4_T5_T6_T7_T9_mT8_P12ihipStream_tbDpT10_ENKUlT_T0_E_clISt17integral_constantIbLb1EES19_IbLb0EEEEDaS15_S16_EUlS15_E_NS1_11comp_targetILNS1_3genE2ELNS1_11target_archE906ELNS1_3gpuE6ELNS1_3repE0EEENS1_30default_config_static_selectorELNS0_4arch9wavefront6targetE1EEEvT1_,comdat
	.protected	_ZN7rocprim17ROCPRIM_400000_NS6detail17trampoline_kernelINS0_14default_configENS1_25partition_config_selectorILNS1_17partition_subalgoE9EiibEEZZNS1_14partition_implILS5_9ELb0ES3_jPKiN6thrust23THRUST_200600_302600_NS17counting_iteratorIiNSB_11use_defaultESD_SD_EEPNS0_10empty_typeENS0_5tupleIJPiSF_EEENSH_IJSI_SG_EEENS0_18inequality_wrapperIN6hipcub16HIPCUB_304000_NS8EqualityEEEPlJSF_EEE10hipError_tPvRmT3_T4_T5_T6_T7_T9_mT8_P12ihipStream_tbDpT10_ENKUlT_T0_E_clISt17integral_constantIbLb1EES19_IbLb0EEEEDaS15_S16_EUlS15_E_NS1_11comp_targetILNS1_3genE2ELNS1_11target_archE906ELNS1_3gpuE6ELNS1_3repE0EEENS1_30default_config_static_selectorELNS0_4arch9wavefront6targetE1EEEvT1_ ; -- Begin function _ZN7rocprim17ROCPRIM_400000_NS6detail17trampoline_kernelINS0_14default_configENS1_25partition_config_selectorILNS1_17partition_subalgoE9EiibEEZZNS1_14partition_implILS5_9ELb0ES3_jPKiN6thrust23THRUST_200600_302600_NS17counting_iteratorIiNSB_11use_defaultESD_SD_EEPNS0_10empty_typeENS0_5tupleIJPiSF_EEENSH_IJSI_SG_EEENS0_18inequality_wrapperIN6hipcub16HIPCUB_304000_NS8EqualityEEEPlJSF_EEE10hipError_tPvRmT3_T4_T5_T6_T7_T9_mT8_P12ihipStream_tbDpT10_ENKUlT_T0_E_clISt17integral_constantIbLb1EES19_IbLb0EEEEDaS15_S16_EUlS15_E_NS1_11comp_targetILNS1_3genE2ELNS1_11target_archE906ELNS1_3gpuE6ELNS1_3repE0EEENS1_30default_config_static_selectorELNS0_4arch9wavefront6targetE1EEEvT1_
	.globl	_ZN7rocprim17ROCPRIM_400000_NS6detail17trampoline_kernelINS0_14default_configENS1_25partition_config_selectorILNS1_17partition_subalgoE9EiibEEZZNS1_14partition_implILS5_9ELb0ES3_jPKiN6thrust23THRUST_200600_302600_NS17counting_iteratorIiNSB_11use_defaultESD_SD_EEPNS0_10empty_typeENS0_5tupleIJPiSF_EEENSH_IJSI_SG_EEENS0_18inequality_wrapperIN6hipcub16HIPCUB_304000_NS8EqualityEEEPlJSF_EEE10hipError_tPvRmT3_T4_T5_T6_T7_T9_mT8_P12ihipStream_tbDpT10_ENKUlT_T0_E_clISt17integral_constantIbLb1EES19_IbLb0EEEEDaS15_S16_EUlS15_E_NS1_11comp_targetILNS1_3genE2ELNS1_11target_archE906ELNS1_3gpuE6ELNS1_3repE0EEENS1_30default_config_static_selectorELNS0_4arch9wavefront6targetE1EEEvT1_
	.p2align	8
	.type	_ZN7rocprim17ROCPRIM_400000_NS6detail17trampoline_kernelINS0_14default_configENS1_25partition_config_selectorILNS1_17partition_subalgoE9EiibEEZZNS1_14partition_implILS5_9ELb0ES3_jPKiN6thrust23THRUST_200600_302600_NS17counting_iteratorIiNSB_11use_defaultESD_SD_EEPNS0_10empty_typeENS0_5tupleIJPiSF_EEENSH_IJSI_SG_EEENS0_18inequality_wrapperIN6hipcub16HIPCUB_304000_NS8EqualityEEEPlJSF_EEE10hipError_tPvRmT3_T4_T5_T6_T7_T9_mT8_P12ihipStream_tbDpT10_ENKUlT_T0_E_clISt17integral_constantIbLb1EES19_IbLb0EEEEDaS15_S16_EUlS15_E_NS1_11comp_targetILNS1_3genE2ELNS1_11target_archE906ELNS1_3gpuE6ELNS1_3repE0EEENS1_30default_config_static_selectorELNS0_4arch9wavefront6targetE1EEEvT1_,@function
_ZN7rocprim17ROCPRIM_400000_NS6detail17trampoline_kernelINS0_14default_configENS1_25partition_config_selectorILNS1_17partition_subalgoE9EiibEEZZNS1_14partition_implILS5_9ELb0ES3_jPKiN6thrust23THRUST_200600_302600_NS17counting_iteratorIiNSB_11use_defaultESD_SD_EEPNS0_10empty_typeENS0_5tupleIJPiSF_EEENSH_IJSI_SG_EEENS0_18inequality_wrapperIN6hipcub16HIPCUB_304000_NS8EqualityEEEPlJSF_EEE10hipError_tPvRmT3_T4_T5_T6_T7_T9_mT8_P12ihipStream_tbDpT10_ENKUlT_T0_E_clISt17integral_constantIbLb1EES19_IbLb0EEEEDaS15_S16_EUlS15_E_NS1_11comp_targetILNS1_3genE2ELNS1_11target_archE906ELNS1_3gpuE6ELNS1_3repE0EEENS1_30default_config_static_selectorELNS0_4arch9wavefront6targetE1EEEvT1_: ; @_ZN7rocprim17ROCPRIM_400000_NS6detail17trampoline_kernelINS0_14default_configENS1_25partition_config_selectorILNS1_17partition_subalgoE9EiibEEZZNS1_14partition_implILS5_9ELb0ES3_jPKiN6thrust23THRUST_200600_302600_NS17counting_iteratorIiNSB_11use_defaultESD_SD_EEPNS0_10empty_typeENS0_5tupleIJPiSF_EEENSH_IJSI_SG_EEENS0_18inequality_wrapperIN6hipcub16HIPCUB_304000_NS8EqualityEEEPlJSF_EEE10hipError_tPvRmT3_T4_T5_T6_T7_T9_mT8_P12ihipStream_tbDpT10_ENKUlT_T0_E_clISt17integral_constantIbLb1EES19_IbLb0EEEEDaS15_S16_EUlS15_E_NS1_11comp_targetILNS1_3genE2ELNS1_11target_archE906ELNS1_3gpuE6ELNS1_3repE0EEENS1_30default_config_static_selectorELNS0_4arch9wavefront6targetE1EEEvT1_
; %bb.0:
	.section	.rodata,"a",@progbits
	.p2align	6, 0x0
	.amdhsa_kernel _ZN7rocprim17ROCPRIM_400000_NS6detail17trampoline_kernelINS0_14default_configENS1_25partition_config_selectorILNS1_17partition_subalgoE9EiibEEZZNS1_14partition_implILS5_9ELb0ES3_jPKiN6thrust23THRUST_200600_302600_NS17counting_iteratorIiNSB_11use_defaultESD_SD_EEPNS0_10empty_typeENS0_5tupleIJPiSF_EEENSH_IJSI_SG_EEENS0_18inequality_wrapperIN6hipcub16HIPCUB_304000_NS8EqualityEEEPlJSF_EEE10hipError_tPvRmT3_T4_T5_T6_T7_T9_mT8_P12ihipStream_tbDpT10_ENKUlT_T0_E_clISt17integral_constantIbLb1EES19_IbLb0EEEEDaS15_S16_EUlS15_E_NS1_11comp_targetILNS1_3genE2ELNS1_11target_archE906ELNS1_3gpuE6ELNS1_3repE0EEENS1_30default_config_static_selectorELNS0_4arch9wavefront6targetE1EEEvT1_
		.amdhsa_group_segment_fixed_size 0
		.amdhsa_private_segment_fixed_size 0
		.amdhsa_kernarg_size 112
		.amdhsa_user_sgpr_count 2
		.amdhsa_user_sgpr_dispatch_ptr 0
		.amdhsa_user_sgpr_queue_ptr 0
		.amdhsa_user_sgpr_kernarg_segment_ptr 1
		.amdhsa_user_sgpr_dispatch_id 0
		.amdhsa_user_sgpr_kernarg_preload_length 0
		.amdhsa_user_sgpr_kernarg_preload_offset 0
		.amdhsa_user_sgpr_private_segment_size 0
		.amdhsa_uses_dynamic_stack 0
		.amdhsa_enable_private_segment 0
		.amdhsa_system_sgpr_workgroup_id_x 1
		.amdhsa_system_sgpr_workgroup_id_y 0
		.amdhsa_system_sgpr_workgroup_id_z 0
		.amdhsa_system_sgpr_workgroup_info 0
		.amdhsa_system_vgpr_workitem_id 0
		.amdhsa_next_free_vgpr 1
		.amdhsa_next_free_sgpr 0
		.amdhsa_accum_offset 4
		.amdhsa_reserve_vcc 0
		.amdhsa_float_round_mode_32 0
		.amdhsa_float_round_mode_16_64 0
		.amdhsa_float_denorm_mode_32 3
		.amdhsa_float_denorm_mode_16_64 3
		.amdhsa_dx10_clamp 1
		.amdhsa_ieee_mode 1
		.amdhsa_fp16_overflow 0
		.amdhsa_tg_split 0
		.amdhsa_exception_fp_ieee_invalid_op 0
		.amdhsa_exception_fp_denorm_src 0
		.amdhsa_exception_fp_ieee_div_zero 0
		.amdhsa_exception_fp_ieee_overflow 0
		.amdhsa_exception_fp_ieee_underflow 0
		.amdhsa_exception_fp_ieee_inexact 0
		.amdhsa_exception_int_div_zero 0
	.end_amdhsa_kernel
	.section	.text._ZN7rocprim17ROCPRIM_400000_NS6detail17trampoline_kernelINS0_14default_configENS1_25partition_config_selectorILNS1_17partition_subalgoE9EiibEEZZNS1_14partition_implILS5_9ELb0ES3_jPKiN6thrust23THRUST_200600_302600_NS17counting_iteratorIiNSB_11use_defaultESD_SD_EEPNS0_10empty_typeENS0_5tupleIJPiSF_EEENSH_IJSI_SG_EEENS0_18inequality_wrapperIN6hipcub16HIPCUB_304000_NS8EqualityEEEPlJSF_EEE10hipError_tPvRmT3_T4_T5_T6_T7_T9_mT8_P12ihipStream_tbDpT10_ENKUlT_T0_E_clISt17integral_constantIbLb1EES19_IbLb0EEEEDaS15_S16_EUlS15_E_NS1_11comp_targetILNS1_3genE2ELNS1_11target_archE906ELNS1_3gpuE6ELNS1_3repE0EEENS1_30default_config_static_selectorELNS0_4arch9wavefront6targetE1EEEvT1_,"axG",@progbits,_ZN7rocprim17ROCPRIM_400000_NS6detail17trampoline_kernelINS0_14default_configENS1_25partition_config_selectorILNS1_17partition_subalgoE9EiibEEZZNS1_14partition_implILS5_9ELb0ES3_jPKiN6thrust23THRUST_200600_302600_NS17counting_iteratorIiNSB_11use_defaultESD_SD_EEPNS0_10empty_typeENS0_5tupleIJPiSF_EEENSH_IJSI_SG_EEENS0_18inequality_wrapperIN6hipcub16HIPCUB_304000_NS8EqualityEEEPlJSF_EEE10hipError_tPvRmT3_T4_T5_T6_T7_T9_mT8_P12ihipStream_tbDpT10_ENKUlT_T0_E_clISt17integral_constantIbLb1EES19_IbLb0EEEEDaS15_S16_EUlS15_E_NS1_11comp_targetILNS1_3genE2ELNS1_11target_archE906ELNS1_3gpuE6ELNS1_3repE0EEENS1_30default_config_static_selectorELNS0_4arch9wavefront6targetE1EEEvT1_,comdat
.Lfunc_end31:
	.size	_ZN7rocprim17ROCPRIM_400000_NS6detail17trampoline_kernelINS0_14default_configENS1_25partition_config_selectorILNS1_17partition_subalgoE9EiibEEZZNS1_14partition_implILS5_9ELb0ES3_jPKiN6thrust23THRUST_200600_302600_NS17counting_iteratorIiNSB_11use_defaultESD_SD_EEPNS0_10empty_typeENS0_5tupleIJPiSF_EEENSH_IJSI_SG_EEENS0_18inequality_wrapperIN6hipcub16HIPCUB_304000_NS8EqualityEEEPlJSF_EEE10hipError_tPvRmT3_T4_T5_T6_T7_T9_mT8_P12ihipStream_tbDpT10_ENKUlT_T0_E_clISt17integral_constantIbLb1EES19_IbLb0EEEEDaS15_S16_EUlS15_E_NS1_11comp_targetILNS1_3genE2ELNS1_11target_archE906ELNS1_3gpuE6ELNS1_3repE0EEENS1_30default_config_static_selectorELNS0_4arch9wavefront6targetE1EEEvT1_, .Lfunc_end31-_ZN7rocprim17ROCPRIM_400000_NS6detail17trampoline_kernelINS0_14default_configENS1_25partition_config_selectorILNS1_17partition_subalgoE9EiibEEZZNS1_14partition_implILS5_9ELb0ES3_jPKiN6thrust23THRUST_200600_302600_NS17counting_iteratorIiNSB_11use_defaultESD_SD_EEPNS0_10empty_typeENS0_5tupleIJPiSF_EEENSH_IJSI_SG_EEENS0_18inequality_wrapperIN6hipcub16HIPCUB_304000_NS8EqualityEEEPlJSF_EEE10hipError_tPvRmT3_T4_T5_T6_T7_T9_mT8_P12ihipStream_tbDpT10_ENKUlT_T0_E_clISt17integral_constantIbLb1EES19_IbLb0EEEEDaS15_S16_EUlS15_E_NS1_11comp_targetILNS1_3genE2ELNS1_11target_archE906ELNS1_3gpuE6ELNS1_3repE0EEENS1_30default_config_static_selectorELNS0_4arch9wavefront6targetE1EEEvT1_
                                        ; -- End function
	.section	.AMDGPU.csdata,"",@progbits
; Kernel info:
; codeLenInByte = 0
; NumSgprs: 6
; NumVgprs: 0
; NumAgprs: 0
; TotalNumVgprs: 0
; ScratchSize: 0
; MemoryBound: 0
; FloatMode: 240
; IeeeMode: 1
; LDSByteSize: 0 bytes/workgroup (compile time only)
; SGPRBlocks: 0
; VGPRBlocks: 0
; NumSGPRsForWavesPerEU: 6
; NumVGPRsForWavesPerEU: 1
; AccumOffset: 4
; Occupancy: 8
; WaveLimiterHint : 0
; COMPUTE_PGM_RSRC2:SCRATCH_EN: 0
; COMPUTE_PGM_RSRC2:USER_SGPR: 2
; COMPUTE_PGM_RSRC2:TRAP_HANDLER: 0
; COMPUTE_PGM_RSRC2:TGID_X_EN: 1
; COMPUTE_PGM_RSRC2:TGID_Y_EN: 0
; COMPUTE_PGM_RSRC2:TGID_Z_EN: 0
; COMPUTE_PGM_RSRC2:TIDIG_COMP_CNT: 0
; COMPUTE_PGM_RSRC3_GFX90A:ACCUM_OFFSET: 0
; COMPUTE_PGM_RSRC3_GFX90A:TG_SPLIT: 0
	.section	.text._ZN7rocprim17ROCPRIM_400000_NS6detail17trampoline_kernelINS0_14default_configENS1_25partition_config_selectorILNS1_17partition_subalgoE9EiibEEZZNS1_14partition_implILS5_9ELb0ES3_jPKiN6thrust23THRUST_200600_302600_NS17counting_iteratorIiNSB_11use_defaultESD_SD_EEPNS0_10empty_typeENS0_5tupleIJPiSF_EEENSH_IJSI_SG_EEENS0_18inequality_wrapperIN6hipcub16HIPCUB_304000_NS8EqualityEEEPlJSF_EEE10hipError_tPvRmT3_T4_T5_T6_T7_T9_mT8_P12ihipStream_tbDpT10_ENKUlT_T0_E_clISt17integral_constantIbLb1EES19_IbLb0EEEEDaS15_S16_EUlS15_E_NS1_11comp_targetILNS1_3genE10ELNS1_11target_archE1200ELNS1_3gpuE4ELNS1_3repE0EEENS1_30default_config_static_selectorELNS0_4arch9wavefront6targetE1EEEvT1_,"axG",@progbits,_ZN7rocprim17ROCPRIM_400000_NS6detail17trampoline_kernelINS0_14default_configENS1_25partition_config_selectorILNS1_17partition_subalgoE9EiibEEZZNS1_14partition_implILS5_9ELb0ES3_jPKiN6thrust23THRUST_200600_302600_NS17counting_iteratorIiNSB_11use_defaultESD_SD_EEPNS0_10empty_typeENS0_5tupleIJPiSF_EEENSH_IJSI_SG_EEENS0_18inequality_wrapperIN6hipcub16HIPCUB_304000_NS8EqualityEEEPlJSF_EEE10hipError_tPvRmT3_T4_T5_T6_T7_T9_mT8_P12ihipStream_tbDpT10_ENKUlT_T0_E_clISt17integral_constantIbLb1EES19_IbLb0EEEEDaS15_S16_EUlS15_E_NS1_11comp_targetILNS1_3genE10ELNS1_11target_archE1200ELNS1_3gpuE4ELNS1_3repE0EEENS1_30default_config_static_selectorELNS0_4arch9wavefront6targetE1EEEvT1_,comdat
	.protected	_ZN7rocprim17ROCPRIM_400000_NS6detail17trampoline_kernelINS0_14default_configENS1_25partition_config_selectorILNS1_17partition_subalgoE9EiibEEZZNS1_14partition_implILS5_9ELb0ES3_jPKiN6thrust23THRUST_200600_302600_NS17counting_iteratorIiNSB_11use_defaultESD_SD_EEPNS0_10empty_typeENS0_5tupleIJPiSF_EEENSH_IJSI_SG_EEENS0_18inequality_wrapperIN6hipcub16HIPCUB_304000_NS8EqualityEEEPlJSF_EEE10hipError_tPvRmT3_T4_T5_T6_T7_T9_mT8_P12ihipStream_tbDpT10_ENKUlT_T0_E_clISt17integral_constantIbLb1EES19_IbLb0EEEEDaS15_S16_EUlS15_E_NS1_11comp_targetILNS1_3genE10ELNS1_11target_archE1200ELNS1_3gpuE4ELNS1_3repE0EEENS1_30default_config_static_selectorELNS0_4arch9wavefront6targetE1EEEvT1_ ; -- Begin function _ZN7rocprim17ROCPRIM_400000_NS6detail17trampoline_kernelINS0_14default_configENS1_25partition_config_selectorILNS1_17partition_subalgoE9EiibEEZZNS1_14partition_implILS5_9ELb0ES3_jPKiN6thrust23THRUST_200600_302600_NS17counting_iteratorIiNSB_11use_defaultESD_SD_EEPNS0_10empty_typeENS0_5tupleIJPiSF_EEENSH_IJSI_SG_EEENS0_18inequality_wrapperIN6hipcub16HIPCUB_304000_NS8EqualityEEEPlJSF_EEE10hipError_tPvRmT3_T4_T5_T6_T7_T9_mT8_P12ihipStream_tbDpT10_ENKUlT_T0_E_clISt17integral_constantIbLb1EES19_IbLb0EEEEDaS15_S16_EUlS15_E_NS1_11comp_targetILNS1_3genE10ELNS1_11target_archE1200ELNS1_3gpuE4ELNS1_3repE0EEENS1_30default_config_static_selectorELNS0_4arch9wavefront6targetE1EEEvT1_
	.globl	_ZN7rocprim17ROCPRIM_400000_NS6detail17trampoline_kernelINS0_14default_configENS1_25partition_config_selectorILNS1_17partition_subalgoE9EiibEEZZNS1_14partition_implILS5_9ELb0ES3_jPKiN6thrust23THRUST_200600_302600_NS17counting_iteratorIiNSB_11use_defaultESD_SD_EEPNS0_10empty_typeENS0_5tupleIJPiSF_EEENSH_IJSI_SG_EEENS0_18inequality_wrapperIN6hipcub16HIPCUB_304000_NS8EqualityEEEPlJSF_EEE10hipError_tPvRmT3_T4_T5_T6_T7_T9_mT8_P12ihipStream_tbDpT10_ENKUlT_T0_E_clISt17integral_constantIbLb1EES19_IbLb0EEEEDaS15_S16_EUlS15_E_NS1_11comp_targetILNS1_3genE10ELNS1_11target_archE1200ELNS1_3gpuE4ELNS1_3repE0EEENS1_30default_config_static_selectorELNS0_4arch9wavefront6targetE1EEEvT1_
	.p2align	8
	.type	_ZN7rocprim17ROCPRIM_400000_NS6detail17trampoline_kernelINS0_14default_configENS1_25partition_config_selectorILNS1_17partition_subalgoE9EiibEEZZNS1_14partition_implILS5_9ELb0ES3_jPKiN6thrust23THRUST_200600_302600_NS17counting_iteratorIiNSB_11use_defaultESD_SD_EEPNS0_10empty_typeENS0_5tupleIJPiSF_EEENSH_IJSI_SG_EEENS0_18inequality_wrapperIN6hipcub16HIPCUB_304000_NS8EqualityEEEPlJSF_EEE10hipError_tPvRmT3_T4_T5_T6_T7_T9_mT8_P12ihipStream_tbDpT10_ENKUlT_T0_E_clISt17integral_constantIbLb1EES19_IbLb0EEEEDaS15_S16_EUlS15_E_NS1_11comp_targetILNS1_3genE10ELNS1_11target_archE1200ELNS1_3gpuE4ELNS1_3repE0EEENS1_30default_config_static_selectorELNS0_4arch9wavefront6targetE1EEEvT1_,@function
_ZN7rocprim17ROCPRIM_400000_NS6detail17trampoline_kernelINS0_14default_configENS1_25partition_config_selectorILNS1_17partition_subalgoE9EiibEEZZNS1_14partition_implILS5_9ELb0ES3_jPKiN6thrust23THRUST_200600_302600_NS17counting_iteratorIiNSB_11use_defaultESD_SD_EEPNS0_10empty_typeENS0_5tupleIJPiSF_EEENSH_IJSI_SG_EEENS0_18inequality_wrapperIN6hipcub16HIPCUB_304000_NS8EqualityEEEPlJSF_EEE10hipError_tPvRmT3_T4_T5_T6_T7_T9_mT8_P12ihipStream_tbDpT10_ENKUlT_T0_E_clISt17integral_constantIbLb1EES19_IbLb0EEEEDaS15_S16_EUlS15_E_NS1_11comp_targetILNS1_3genE10ELNS1_11target_archE1200ELNS1_3gpuE4ELNS1_3repE0EEENS1_30default_config_static_selectorELNS0_4arch9wavefront6targetE1EEEvT1_: ; @_ZN7rocprim17ROCPRIM_400000_NS6detail17trampoline_kernelINS0_14default_configENS1_25partition_config_selectorILNS1_17partition_subalgoE9EiibEEZZNS1_14partition_implILS5_9ELb0ES3_jPKiN6thrust23THRUST_200600_302600_NS17counting_iteratorIiNSB_11use_defaultESD_SD_EEPNS0_10empty_typeENS0_5tupleIJPiSF_EEENSH_IJSI_SG_EEENS0_18inequality_wrapperIN6hipcub16HIPCUB_304000_NS8EqualityEEEPlJSF_EEE10hipError_tPvRmT3_T4_T5_T6_T7_T9_mT8_P12ihipStream_tbDpT10_ENKUlT_T0_E_clISt17integral_constantIbLb1EES19_IbLb0EEEEDaS15_S16_EUlS15_E_NS1_11comp_targetILNS1_3genE10ELNS1_11target_archE1200ELNS1_3gpuE4ELNS1_3repE0EEENS1_30default_config_static_selectorELNS0_4arch9wavefront6targetE1EEEvT1_
; %bb.0:
	.section	.rodata,"a",@progbits
	.p2align	6, 0x0
	.amdhsa_kernel _ZN7rocprim17ROCPRIM_400000_NS6detail17trampoline_kernelINS0_14default_configENS1_25partition_config_selectorILNS1_17partition_subalgoE9EiibEEZZNS1_14partition_implILS5_9ELb0ES3_jPKiN6thrust23THRUST_200600_302600_NS17counting_iteratorIiNSB_11use_defaultESD_SD_EEPNS0_10empty_typeENS0_5tupleIJPiSF_EEENSH_IJSI_SG_EEENS0_18inequality_wrapperIN6hipcub16HIPCUB_304000_NS8EqualityEEEPlJSF_EEE10hipError_tPvRmT3_T4_T5_T6_T7_T9_mT8_P12ihipStream_tbDpT10_ENKUlT_T0_E_clISt17integral_constantIbLb1EES19_IbLb0EEEEDaS15_S16_EUlS15_E_NS1_11comp_targetILNS1_3genE10ELNS1_11target_archE1200ELNS1_3gpuE4ELNS1_3repE0EEENS1_30default_config_static_selectorELNS0_4arch9wavefront6targetE1EEEvT1_
		.amdhsa_group_segment_fixed_size 0
		.amdhsa_private_segment_fixed_size 0
		.amdhsa_kernarg_size 112
		.amdhsa_user_sgpr_count 2
		.amdhsa_user_sgpr_dispatch_ptr 0
		.amdhsa_user_sgpr_queue_ptr 0
		.amdhsa_user_sgpr_kernarg_segment_ptr 1
		.amdhsa_user_sgpr_dispatch_id 0
		.amdhsa_user_sgpr_kernarg_preload_length 0
		.amdhsa_user_sgpr_kernarg_preload_offset 0
		.amdhsa_user_sgpr_private_segment_size 0
		.amdhsa_uses_dynamic_stack 0
		.amdhsa_enable_private_segment 0
		.amdhsa_system_sgpr_workgroup_id_x 1
		.amdhsa_system_sgpr_workgroup_id_y 0
		.amdhsa_system_sgpr_workgroup_id_z 0
		.amdhsa_system_sgpr_workgroup_info 0
		.amdhsa_system_vgpr_workitem_id 0
		.amdhsa_next_free_vgpr 1
		.amdhsa_next_free_sgpr 0
		.amdhsa_accum_offset 4
		.amdhsa_reserve_vcc 0
		.amdhsa_float_round_mode_32 0
		.amdhsa_float_round_mode_16_64 0
		.amdhsa_float_denorm_mode_32 3
		.amdhsa_float_denorm_mode_16_64 3
		.amdhsa_dx10_clamp 1
		.amdhsa_ieee_mode 1
		.amdhsa_fp16_overflow 0
		.amdhsa_tg_split 0
		.amdhsa_exception_fp_ieee_invalid_op 0
		.amdhsa_exception_fp_denorm_src 0
		.amdhsa_exception_fp_ieee_div_zero 0
		.amdhsa_exception_fp_ieee_overflow 0
		.amdhsa_exception_fp_ieee_underflow 0
		.amdhsa_exception_fp_ieee_inexact 0
		.amdhsa_exception_int_div_zero 0
	.end_amdhsa_kernel
	.section	.text._ZN7rocprim17ROCPRIM_400000_NS6detail17trampoline_kernelINS0_14default_configENS1_25partition_config_selectorILNS1_17partition_subalgoE9EiibEEZZNS1_14partition_implILS5_9ELb0ES3_jPKiN6thrust23THRUST_200600_302600_NS17counting_iteratorIiNSB_11use_defaultESD_SD_EEPNS0_10empty_typeENS0_5tupleIJPiSF_EEENSH_IJSI_SG_EEENS0_18inequality_wrapperIN6hipcub16HIPCUB_304000_NS8EqualityEEEPlJSF_EEE10hipError_tPvRmT3_T4_T5_T6_T7_T9_mT8_P12ihipStream_tbDpT10_ENKUlT_T0_E_clISt17integral_constantIbLb1EES19_IbLb0EEEEDaS15_S16_EUlS15_E_NS1_11comp_targetILNS1_3genE10ELNS1_11target_archE1200ELNS1_3gpuE4ELNS1_3repE0EEENS1_30default_config_static_selectorELNS0_4arch9wavefront6targetE1EEEvT1_,"axG",@progbits,_ZN7rocprim17ROCPRIM_400000_NS6detail17trampoline_kernelINS0_14default_configENS1_25partition_config_selectorILNS1_17partition_subalgoE9EiibEEZZNS1_14partition_implILS5_9ELb0ES3_jPKiN6thrust23THRUST_200600_302600_NS17counting_iteratorIiNSB_11use_defaultESD_SD_EEPNS0_10empty_typeENS0_5tupleIJPiSF_EEENSH_IJSI_SG_EEENS0_18inequality_wrapperIN6hipcub16HIPCUB_304000_NS8EqualityEEEPlJSF_EEE10hipError_tPvRmT3_T4_T5_T6_T7_T9_mT8_P12ihipStream_tbDpT10_ENKUlT_T0_E_clISt17integral_constantIbLb1EES19_IbLb0EEEEDaS15_S16_EUlS15_E_NS1_11comp_targetILNS1_3genE10ELNS1_11target_archE1200ELNS1_3gpuE4ELNS1_3repE0EEENS1_30default_config_static_selectorELNS0_4arch9wavefront6targetE1EEEvT1_,comdat
.Lfunc_end32:
	.size	_ZN7rocprim17ROCPRIM_400000_NS6detail17trampoline_kernelINS0_14default_configENS1_25partition_config_selectorILNS1_17partition_subalgoE9EiibEEZZNS1_14partition_implILS5_9ELb0ES3_jPKiN6thrust23THRUST_200600_302600_NS17counting_iteratorIiNSB_11use_defaultESD_SD_EEPNS0_10empty_typeENS0_5tupleIJPiSF_EEENSH_IJSI_SG_EEENS0_18inequality_wrapperIN6hipcub16HIPCUB_304000_NS8EqualityEEEPlJSF_EEE10hipError_tPvRmT3_T4_T5_T6_T7_T9_mT8_P12ihipStream_tbDpT10_ENKUlT_T0_E_clISt17integral_constantIbLb1EES19_IbLb0EEEEDaS15_S16_EUlS15_E_NS1_11comp_targetILNS1_3genE10ELNS1_11target_archE1200ELNS1_3gpuE4ELNS1_3repE0EEENS1_30default_config_static_selectorELNS0_4arch9wavefront6targetE1EEEvT1_, .Lfunc_end32-_ZN7rocprim17ROCPRIM_400000_NS6detail17trampoline_kernelINS0_14default_configENS1_25partition_config_selectorILNS1_17partition_subalgoE9EiibEEZZNS1_14partition_implILS5_9ELb0ES3_jPKiN6thrust23THRUST_200600_302600_NS17counting_iteratorIiNSB_11use_defaultESD_SD_EEPNS0_10empty_typeENS0_5tupleIJPiSF_EEENSH_IJSI_SG_EEENS0_18inequality_wrapperIN6hipcub16HIPCUB_304000_NS8EqualityEEEPlJSF_EEE10hipError_tPvRmT3_T4_T5_T6_T7_T9_mT8_P12ihipStream_tbDpT10_ENKUlT_T0_E_clISt17integral_constantIbLb1EES19_IbLb0EEEEDaS15_S16_EUlS15_E_NS1_11comp_targetILNS1_3genE10ELNS1_11target_archE1200ELNS1_3gpuE4ELNS1_3repE0EEENS1_30default_config_static_selectorELNS0_4arch9wavefront6targetE1EEEvT1_
                                        ; -- End function
	.section	.AMDGPU.csdata,"",@progbits
; Kernel info:
; codeLenInByte = 0
; NumSgprs: 6
; NumVgprs: 0
; NumAgprs: 0
; TotalNumVgprs: 0
; ScratchSize: 0
; MemoryBound: 0
; FloatMode: 240
; IeeeMode: 1
; LDSByteSize: 0 bytes/workgroup (compile time only)
; SGPRBlocks: 0
; VGPRBlocks: 0
; NumSGPRsForWavesPerEU: 6
; NumVGPRsForWavesPerEU: 1
; AccumOffset: 4
; Occupancy: 8
; WaveLimiterHint : 0
; COMPUTE_PGM_RSRC2:SCRATCH_EN: 0
; COMPUTE_PGM_RSRC2:USER_SGPR: 2
; COMPUTE_PGM_RSRC2:TRAP_HANDLER: 0
; COMPUTE_PGM_RSRC2:TGID_X_EN: 1
; COMPUTE_PGM_RSRC2:TGID_Y_EN: 0
; COMPUTE_PGM_RSRC2:TGID_Z_EN: 0
; COMPUTE_PGM_RSRC2:TIDIG_COMP_CNT: 0
; COMPUTE_PGM_RSRC3_GFX90A:ACCUM_OFFSET: 0
; COMPUTE_PGM_RSRC3_GFX90A:TG_SPLIT: 0
	.section	.text._ZN7rocprim17ROCPRIM_400000_NS6detail17trampoline_kernelINS0_14default_configENS1_25partition_config_selectorILNS1_17partition_subalgoE9EiibEEZZNS1_14partition_implILS5_9ELb0ES3_jPKiN6thrust23THRUST_200600_302600_NS17counting_iteratorIiNSB_11use_defaultESD_SD_EEPNS0_10empty_typeENS0_5tupleIJPiSF_EEENSH_IJSI_SG_EEENS0_18inequality_wrapperIN6hipcub16HIPCUB_304000_NS8EqualityEEEPlJSF_EEE10hipError_tPvRmT3_T4_T5_T6_T7_T9_mT8_P12ihipStream_tbDpT10_ENKUlT_T0_E_clISt17integral_constantIbLb1EES19_IbLb0EEEEDaS15_S16_EUlS15_E_NS1_11comp_targetILNS1_3genE9ELNS1_11target_archE1100ELNS1_3gpuE3ELNS1_3repE0EEENS1_30default_config_static_selectorELNS0_4arch9wavefront6targetE1EEEvT1_,"axG",@progbits,_ZN7rocprim17ROCPRIM_400000_NS6detail17trampoline_kernelINS0_14default_configENS1_25partition_config_selectorILNS1_17partition_subalgoE9EiibEEZZNS1_14partition_implILS5_9ELb0ES3_jPKiN6thrust23THRUST_200600_302600_NS17counting_iteratorIiNSB_11use_defaultESD_SD_EEPNS0_10empty_typeENS0_5tupleIJPiSF_EEENSH_IJSI_SG_EEENS0_18inequality_wrapperIN6hipcub16HIPCUB_304000_NS8EqualityEEEPlJSF_EEE10hipError_tPvRmT3_T4_T5_T6_T7_T9_mT8_P12ihipStream_tbDpT10_ENKUlT_T0_E_clISt17integral_constantIbLb1EES19_IbLb0EEEEDaS15_S16_EUlS15_E_NS1_11comp_targetILNS1_3genE9ELNS1_11target_archE1100ELNS1_3gpuE3ELNS1_3repE0EEENS1_30default_config_static_selectorELNS0_4arch9wavefront6targetE1EEEvT1_,comdat
	.protected	_ZN7rocprim17ROCPRIM_400000_NS6detail17trampoline_kernelINS0_14default_configENS1_25partition_config_selectorILNS1_17partition_subalgoE9EiibEEZZNS1_14partition_implILS5_9ELb0ES3_jPKiN6thrust23THRUST_200600_302600_NS17counting_iteratorIiNSB_11use_defaultESD_SD_EEPNS0_10empty_typeENS0_5tupleIJPiSF_EEENSH_IJSI_SG_EEENS0_18inequality_wrapperIN6hipcub16HIPCUB_304000_NS8EqualityEEEPlJSF_EEE10hipError_tPvRmT3_T4_T5_T6_T7_T9_mT8_P12ihipStream_tbDpT10_ENKUlT_T0_E_clISt17integral_constantIbLb1EES19_IbLb0EEEEDaS15_S16_EUlS15_E_NS1_11comp_targetILNS1_3genE9ELNS1_11target_archE1100ELNS1_3gpuE3ELNS1_3repE0EEENS1_30default_config_static_selectorELNS0_4arch9wavefront6targetE1EEEvT1_ ; -- Begin function _ZN7rocprim17ROCPRIM_400000_NS6detail17trampoline_kernelINS0_14default_configENS1_25partition_config_selectorILNS1_17partition_subalgoE9EiibEEZZNS1_14partition_implILS5_9ELb0ES3_jPKiN6thrust23THRUST_200600_302600_NS17counting_iteratorIiNSB_11use_defaultESD_SD_EEPNS0_10empty_typeENS0_5tupleIJPiSF_EEENSH_IJSI_SG_EEENS0_18inequality_wrapperIN6hipcub16HIPCUB_304000_NS8EqualityEEEPlJSF_EEE10hipError_tPvRmT3_T4_T5_T6_T7_T9_mT8_P12ihipStream_tbDpT10_ENKUlT_T0_E_clISt17integral_constantIbLb1EES19_IbLb0EEEEDaS15_S16_EUlS15_E_NS1_11comp_targetILNS1_3genE9ELNS1_11target_archE1100ELNS1_3gpuE3ELNS1_3repE0EEENS1_30default_config_static_selectorELNS0_4arch9wavefront6targetE1EEEvT1_
	.globl	_ZN7rocprim17ROCPRIM_400000_NS6detail17trampoline_kernelINS0_14default_configENS1_25partition_config_selectorILNS1_17partition_subalgoE9EiibEEZZNS1_14partition_implILS5_9ELb0ES3_jPKiN6thrust23THRUST_200600_302600_NS17counting_iteratorIiNSB_11use_defaultESD_SD_EEPNS0_10empty_typeENS0_5tupleIJPiSF_EEENSH_IJSI_SG_EEENS0_18inequality_wrapperIN6hipcub16HIPCUB_304000_NS8EqualityEEEPlJSF_EEE10hipError_tPvRmT3_T4_T5_T6_T7_T9_mT8_P12ihipStream_tbDpT10_ENKUlT_T0_E_clISt17integral_constantIbLb1EES19_IbLb0EEEEDaS15_S16_EUlS15_E_NS1_11comp_targetILNS1_3genE9ELNS1_11target_archE1100ELNS1_3gpuE3ELNS1_3repE0EEENS1_30default_config_static_selectorELNS0_4arch9wavefront6targetE1EEEvT1_
	.p2align	8
	.type	_ZN7rocprim17ROCPRIM_400000_NS6detail17trampoline_kernelINS0_14default_configENS1_25partition_config_selectorILNS1_17partition_subalgoE9EiibEEZZNS1_14partition_implILS5_9ELb0ES3_jPKiN6thrust23THRUST_200600_302600_NS17counting_iteratorIiNSB_11use_defaultESD_SD_EEPNS0_10empty_typeENS0_5tupleIJPiSF_EEENSH_IJSI_SG_EEENS0_18inequality_wrapperIN6hipcub16HIPCUB_304000_NS8EqualityEEEPlJSF_EEE10hipError_tPvRmT3_T4_T5_T6_T7_T9_mT8_P12ihipStream_tbDpT10_ENKUlT_T0_E_clISt17integral_constantIbLb1EES19_IbLb0EEEEDaS15_S16_EUlS15_E_NS1_11comp_targetILNS1_3genE9ELNS1_11target_archE1100ELNS1_3gpuE3ELNS1_3repE0EEENS1_30default_config_static_selectorELNS0_4arch9wavefront6targetE1EEEvT1_,@function
_ZN7rocprim17ROCPRIM_400000_NS6detail17trampoline_kernelINS0_14default_configENS1_25partition_config_selectorILNS1_17partition_subalgoE9EiibEEZZNS1_14partition_implILS5_9ELb0ES3_jPKiN6thrust23THRUST_200600_302600_NS17counting_iteratorIiNSB_11use_defaultESD_SD_EEPNS0_10empty_typeENS0_5tupleIJPiSF_EEENSH_IJSI_SG_EEENS0_18inequality_wrapperIN6hipcub16HIPCUB_304000_NS8EqualityEEEPlJSF_EEE10hipError_tPvRmT3_T4_T5_T6_T7_T9_mT8_P12ihipStream_tbDpT10_ENKUlT_T0_E_clISt17integral_constantIbLb1EES19_IbLb0EEEEDaS15_S16_EUlS15_E_NS1_11comp_targetILNS1_3genE9ELNS1_11target_archE1100ELNS1_3gpuE3ELNS1_3repE0EEENS1_30default_config_static_selectorELNS0_4arch9wavefront6targetE1EEEvT1_: ; @_ZN7rocprim17ROCPRIM_400000_NS6detail17trampoline_kernelINS0_14default_configENS1_25partition_config_selectorILNS1_17partition_subalgoE9EiibEEZZNS1_14partition_implILS5_9ELb0ES3_jPKiN6thrust23THRUST_200600_302600_NS17counting_iteratorIiNSB_11use_defaultESD_SD_EEPNS0_10empty_typeENS0_5tupleIJPiSF_EEENSH_IJSI_SG_EEENS0_18inequality_wrapperIN6hipcub16HIPCUB_304000_NS8EqualityEEEPlJSF_EEE10hipError_tPvRmT3_T4_T5_T6_T7_T9_mT8_P12ihipStream_tbDpT10_ENKUlT_T0_E_clISt17integral_constantIbLb1EES19_IbLb0EEEEDaS15_S16_EUlS15_E_NS1_11comp_targetILNS1_3genE9ELNS1_11target_archE1100ELNS1_3gpuE3ELNS1_3repE0EEENS1_30default_config_static_selectorELNS0_4arch9wavefront6targetE1EEEvT1_
; %bb.0:
	.section	.rodata,"a",@progbits
	.p2align	6, 0x0
	.amdhsa_kernel _ZN7rocprim17ROCPRIM_400000_NS6detail17trampoline_kernelINS0_14default_configENS1_25partition_config_selectorILNS1_17partition_subalgoE9EiibEEZZNS1_14partition_implILS5_9ELb0ES3_jPKiN6thrust23THRUST_200600_302600_NS17counting_iteratorIiNSB_11use_defaultESD_SD_EEPNS0_10empty_typeENS0_5tupleIJPiSF_EEENSH_IJSI_SG_EEENS0_18inequality_wrapperIN6hipcub16HIPCUB_304000_NS8EqualityEEEPlJSF_EEE10hipError_tPvRmT3_T4_T5_T6_T7_T9_mT8_P12ihipStream_tbDpT10_ENKUlT_T0_E_clISt17integral_constantIbLb1EES19_IbLb0EEEEDaS15_S16_EUlS15_E_NS1_11comp_targetILNS1_3genE9ELNS1_11target_archE1100ELNS1_3gpuE3ELNS1_3repE0EEENS1_30default_config_static_selectorELNS0_4arch9wavefront6targetE1EEEvT1_
		.amdhsa_group_segment_fixed_size 0
		.amdhsa_private_segment_fixed_size 0
		.amdhsa_kernarg_size 112
		.amdhsa_user_sgpr_count 2
		.amdhsa_user_sgpr_dispatch_ptr 0
		.amdhsa_user_sgpr_queue_ptr 0
		.amdhsa_user_sgpr_kernarg_segment_ptr 1
		.amdhsa_user_sgpr_dispatch_id 0
		.amdhsa_user_sgpr_kernarg_preload_length 0
		.amdhsa_user_sgpr_kernarg_preload_offset 0
		.amdhsa_user_sgpr_private_segment_size 0
		.amdhsa_uses_dynamic_stack 0
		.amdhsa_enable_private_segment 0
		.amdhsa_system_sgpr_workgroup_id_x 1
		.amdhsa_system_sgpr_workgroup_id_y 0
		.amdhsa_system_sgpr_workgroup_id_z 0
		.amdhsa_system_sgpr_workgroup_info 0
		.amdhsa_system_vgpr_workitem_id 0
		.amdhsa_next_free_vgpr 1
		.amdhsa_next_free_sgpr 0
		.amdhsa_accum_offset 4
		.amdhsa_reserve_vcc 0
		.amdhsa_float_round_mode_32 0
		.amdhsa_float_round_mode_16_64 0
		.amdhsa_float_denorm_mode_32 3
		.amdhsa_float_denorm_mode_16_64 3
		.amdhsa_dx10_clamp 1
		.amdhsa_ieee_mode 1
		.amdhsa_fp16_overflow 0
		.amdhsa_tg_split 0
		.amdhsa_exception_fp_ieee_invalid_op 0
		.amdhsa_exception_fp_denorm_src 0
		.amdhsa_exception_fp_ieee_div_zero 0
		.amdhsa_exception_fp_ieee_overflow 0
		.amdhsa_exception_fp_ieee_underflow 0
		.amdhsa_exception_fp_ieee_inexact 0
		.amdhsa_exception_int_div_zero 0
	.end_amdhsa_kernel
	.section	.text._ZN7rocprim17ROCPRIM_400000_NS6detail17trampoline_kernelINS0_14default_configENS1_25partition_config_selectorILNS1_17partition_subalgoE9EiibEEZZNS1_14partition_implILS5_9ELb0ES3_jPKiN6thrust23THRUST_200600_302600_NS17counting_iteratorIiNSB_11use_defaultESD_SD_EEPNS0_10empty_typeENS0_5tupleIJPiSF_EEENSH_IJSI_SG_EEENS0_18inequality_wrapperIN6hipcub16HIPCUB_304000_NS8EqualityEEEPlJSF_EEE10hipError_tPvRmT3_T4_T5_T6_T7_T9_mT8_P12ihipStream_tbDpT10_ENKUlT_T0_E_clISt17integral_constantIbLb1EES19_IbLb0EEEEDaS15_S16_EUlS15_E_NS1_11comp_targetILNS1_3genE9ELNS1_11target_archE1100ELNS1_3gpuE3ELNS1_3repE0EEENS1_30default_config_static_selectorELNS0_4arch9wavefront6targetE1EEEvT1_,"axG",@progbits,_ZN7rocprim17ROCPRIM_400000_NS6detail17trampoline_kernelINS0_14default_configENS1_25partition_config_selectorILNS1_17partition_subalgoE9EiibEEZZNS1_14partition_implILS5_9ELb0ES3_jPKiN6thrust23THRUST_200600_302600_NS17counting_iteratorIiNSB_11use_defaultESD_SD_EEPNS0_10empty_typeENS0_5tupleIJPiSF_EEENSH_IJSI_SG_EEENS0_18inequality_wrapperIN6hipcub16HIPCUB_304000_NS8EqualityEEEPlJSF_EEE10hipError_tPvRmT3_T4_T5_T6_T7_T9_mT8_P12ihipStream_tbDpT10_ENKUlT_T0_E_clISt17integral_constantIbLb1EES19_IbLb0EEEEDaS15_S16_EUlS15_E_NS1_11comp_targetILNS1_3genE9ELNS1_11target_archE1100ELNS1_3gpuE3ELNS1_3repE0EEENS1_30default_config_static_selectorELNS0_4arch9wavefront6targetE1EEEvT1_,comdat
.Lfunc_end33:
	.size	_ZN7rocprim17ROCPRIM_400000_NS6detail17trampoline_kernelINS0_14default_configENS1_25partition_config_selectorILNS1_17partition_subalgoE9EiibEEZZNS1_14partition_implILS5_9ELb0ES3_jPKiN6thrust23THRUST_200600_302600_NS17counting_iteratorIiNSB_11use_defaultESD_SD_EEPNS0_10empty_typeENS0_5tupleIJPiSF_EEENSH_IJSI_SG_EEENS0_18inequality_wrapperIN6hipcub16HIPCUB_304000_NS8EqualityEEEPlJSF_EEE10hipError_tPvRmT3_T4_T5_T6_T7_T9_mT8_P12ihipStream_tbDpT10_ENKUlT_T0_E_clISt17integral_constantIbLb1EES19_IbLb0EEEEDaS15_S16_EUlS15_E_NS1_11comp_targetILNS1_3genE9ELNS1_11target_archE1100ELNS1_3gpuE3ELNS1_3repE0EEENS1_30default_config_static_selectorELNS0_4arch9wavefront6targetE1EEEvT1_, .Lfunc_end33-_ZN7rocprim17ROCPRIM_400000_NS6detail17trampoline_kernelINS0_14default_configENS1_25partition_config_selectorILNS1_17partition_subalgoE9EiibEEZZNS1_14partition_implILS5_9ELb0ES3_jPKiN6thrust23THRUST_200600_302600_NS17counting_iteratorIiNSB_11use_defaultESD_SD_EEPNS0_10empty_typeENS0_5tupleIJPiSF_EEENSH_IJSI_SG_EEENS0_18inequality_wrapperIN6hipcub16HIPCUB_304000_NS8EqualityEEEPlJSF_EEE10hipError_tPvRmT3_T4_T5_T6_T7_T9_mT8_P12ihipStream_tbDpT10_ENKUlT_T0_E_clISt17integral_constantIbLb1EES19_IbLb0EEEEDaS15_S16_EUlS15_E_NS1_11comp_targetILNS1_3genE9ELNS1_11target_archE1100ELNS1_3gpuE3ELNS1_3repE0EEENS1_30default_config_static_selectorELNS0_4arch9wavefront6targetE1EEEvT1_
                                        ; -- End function
	.section	.AMDGPU.csdata,"",@progbits
; Kernel info:
; codeLenInByte = 0
; NumSgprs: 6
; NumVgprs: 0
; NumAgprs: 0
; TotalNumVgprs: 0
; ScratchSize: 0
; MemoryBound: 0
; FloatMode: 240
; IeeeMode: 1
; LDSByteSize: 0 bytes/workgroup (compile time only)
; SGPRBlocks: 0
; VGPRBlocks: 0
; NumSGPRsForWavesPerEU: 6
; NumVGPRsForWavesPerEU: 1
; AccumOffset: 4
; Occupancy: 8
; WaveLimiterHint : 0
; COMPUTE_PGM_RSRC2:SCRATCH_EN: 0
; COMPUTE_PGM_RSRC2:USER_SGPR: 2
; COMPUTE_PGM_RSRC2:TRAP_HANDLER: 0
; COMPUTE_PGM_RSRC2:TGID_X_EN: 1
; COMPUTE_PGM_RSRC2:TGID_Y_EN: 0
; COMPUTE_PGM_RSRC2:TGID_Z_EN: 0
; COMPUTE_PGM_RSRC2:TIDIG_COMP_CNT: 0
; COMPUTE_PGM_RSRC3_GFX90A:ACCUM_OFFSET: 0
; COMPUTE_PGM_RSRC3_GFX90A:TG_SPLIT: 0
	.section	.text._ZN7rocprim17ROCPRIM_400000_NS6detail17trampoline_kernelINS0_14default_configENS1_25partition_config_selectorILNS1_17partition_subalgoE9EiibEEZZNS1_14partition_implILS5_9ELb0ES3_jPKiN6thrust23THRUST_200600_302600_NS17counting_iteratorIiNSB_11use_defaultESD_SD_EEPNS0_10empty_typeENS0_5tupleIJPiSF_EEENSH_IJSI_SG_EEENS0_18inequality_wrapperIN6hipcub16HIPCUB_304000_NS8EqualityEEEPlJSF_EEE10hipError_tPvRmT3_T4_T5_T6_T7_T9_mT8_P12ihipStream_tbDpT10_ENKUlT_T0_E_clISt17integral_constantIbLb1EES19_IbLb0EEEEDaS15_S16_EUlS15_E_NS1_11comp_targetILNS1_3genE8ELNS1_11target_archE1030ELNS1_3gpuE2ELNS1_3repE0EEENS1_30default_config_static_selectorELNS0_4arch9wavefront6targetE1EEEvT1_,"axG",@progbits,_ZN7rocprim17ROCPRIM_400000_NS6detail17trampoline_kernelINS0_14default_configENS1_25partition_config_selectorILNS1_17partition_subalgoE9EiibEEZZNS1_14partition_implILS5_9ELb0ES3_jPKiN6thrust23THRUST_200600_302600_NS17counting_iteratorIiNSB_11use_defaultESD_SD_EEPNS0_10empty_typeENS0_5tupleIJPiSF_EEENSH_IJSI_SG_EEENS0_18inequality_wrapperIN6hipcub16HIPCUB_304000_NS8EqualityEEEPlJSF_EEE10hipError_tPvRmT3_T4_T5_T6_T7_T9_mT8_P12ihipStream_tbDpT10_ENKUlT_T0_E_clISt17integral_constantIbLb1EES19_IbLb0EEEEDaS15_S16_EUlS15_E_NS1_11comp_targetILNS1_3genE8ELNS1_11target_archE1030ELNS1_3gpuE2ELNS1_3repE0EEENS1_30default_config_static_selectorELNS0_4arch9wavefront6targetE1EEEvT1_,comdat
	.protected	_ZN7rocprim17ROCPRIM_400000_NS6detail17trampoline_kernelINS0_14default_configENS1_25partition_config_selectorILNS1_17partition_subalgoE9EiibEEZZNS1_14partition_implILS5_9ELb0ES3_jPKiN6thrust23THRUST_200600_302600_NS17counting_iteratorIiNSB_11use_defaultESD_SD_EEPNS0_10empty_typeENS0_5tupleIJPiSF_EEENSH_IJSI_SG_EEENS0_18inequality_wrapperIN6hipcub16HIPCUB_304000_NS8EqualityEEEPlJSF_EEE10hipError_tPvRmT3_T4_T5_T6_T7_T9_mT8_P12ihipStream_tbDpT10_ENKUlT_T0_E_clISt17integral_constantIbLb1EES19_IbLb0EEEEDaS15_S16_EUlS15_E_NS1_11comp_targetILNS1_3genE8ELNS1_11target_archE1030ELNS1_3gpuE2ELNS1_3repE0EEENS1_30default_config_static_selectorELNS0_4arch9wavefront6targetE1EEEvT1_ ; -- Begin function _ZN7rocprim17ROCPRIM_400000_NS6detail17trampoline_kernelINS0_14default_configENS1_25partition_config_selectorILNS1_17partition_subalgoE9EiibEEZZNS1_14partition_implILS5_9ELb0ES3_jPKiN6thrust23THRUST_200600_302600_NS17counting_iteratorIiNSB_11use_defaultESD_SD_EEPNS0_10empty_typeENS0_5tupleIJPiSF_EEENSH_IJSI_SG_EEENS0_18inequality_wrapperIN6hipcub16HIPCUB_304000_NS8EqualityEEEPlJSF_EEE10hipError_tPvRmT3_T4_T5_T6_T7_T9_mT8_P12ihipStream_tbDpT10_ENKUlT_T0_E_clISt17integral_constantIbLb1EES19_IbLb0EEEEDaS15_S16_EUlS15_E_NS1_11comp_targetILNS1_3genE8ELNS1_11target_archE1030ELNS1_3gpuE2ELNS1_3repE0EEENS1_30default_config_static_selectorELNS0_4arch9wavefront6targetE1EEEvT1_
	.globl	_ZN7rocprim17ROCPRIM_400000_NS6detail17trampoline_kernelINS0_14default_configENS1_25partition_config_selectorILNS1_17partition_subalgoE9EiibEEZZNS1_14partition_implILS5_9ELb0ES3_jPKiN6thrust23THRUST_200600_302600_NS17counting_iteratorIiNSB_11use_defaultESD_SD_EEPNS0_10empty_typeENS0_5tupleIJPiSF_EEENSH_IJSI_SG_EEENS0_18inequality_wrapperIN6hipcub16HIPCUB_304000_NS8EqualityEEEPlJSF_EEE10hipError_tPvRmT3_T4_T5_T6_T7_T9_mT8_P12ihipStream_tbDpT10_ENKUlT_T0_E_clISt17integral_constantIbLb1EES19_IbLb0EEEEDaS15_S16_EUlS15_E_NS1_11comp_targetILNS1_3genE8ELNS1_11target_archE1030ELNS1_3gpuE2ELNS1_3repE0EEENS1_30default_config_static_selectorELNS0_4arch9wavefront6targetE1EEEvT1_
	.p2align	8
	.type	_ZN7rocprim17ROCPRIM_400000_NS6detail17trampoline_kernelINS0_14default_configENS1_25partition_config_selectorILNS1_17partition_subalgoE9EiibEEZZNS1_14partition_implILS5_9ELb0ES3_jPKiN6thrust23THRUST_200600_302600_NS17counting_iteratorIiNSB_11use_defaultESD_SD_EEPNS0_10empty_typeENS0_5tupleIJPiSF_EEENSH_IJSI_SG_EEENS0_18inequality_wrapperIN6hipcub16HIPCUB_304000_NS8EqualityEEEPlJSF_EEE10hipError_tPvRmT3_T4_T5_T6_T7_T9_mT8_P12ihipStream_tbDpT10_ENKUlT_T0_E_clISt17integral_constantIbLb1EES19_IbLb0EEEEDaS15_S16_EUlS15_E_NS1_11comp_targetILNS1_3genE8ELNS1_11target_archE1030ELNS1_3gpuE2ELNS1_3repE0EEENS1_30default_config_static_selectorELNS0_4arch9wavefront6targetE1EEEvT1_,@function
_ZN7rocprim17ROCPRIM_400000_NS6detail17trampoline_kernelINS0_14default_configENS1_25partition_config_selectorILNS1_17partition_subalgoE9EiibEEZZNS1_14partition_implILS5_9ELb0ES3_jPKiN6thrust23THRUST_200600_302600_NS17counting_iteratorIiNSB_11use_defaultESD_SD_EEPNS0_10empty_typeENS0_5tupleIJPiSF_EEENSH_IJSI_SG_EEENS0_18inequality_wrapperIN6hipcub16HIPCUB_304000_NS8EqualityEEEPlJSF_EEE10hipError_tPvRmT3_T4_T5_T6_T7_T9_mT8_P12ihipStream_tbDpT10_ENKUlT_T0_E_clISt17integral_constantIbLb1EES19_IbLb0EEEEDaS15_S16_EUlS15_E_NS1_11comp_targetILNS1_3genE8ELNS1_11target_archE1030ELNS1_3gpuE2ELNS1_3repE0EEENS1_30default_config_static_selectorELNS0_4arch9wavefront6targetE1EEEvT1_: ; @_ZN7rocprim17ROCPRIM_400000_NS6detail17trampoline_kernelINS0_14default_configENS1_25partition_config_selectorILNS1_17partition_subalgoE9EiibEEZZNS1_14partition_implILS5_9ELb0ES3_jPKiN6thrust23THRUST_200600_302600_NS17counting_iteratorIiNSB_11use_defaultESD_SD_EEPNS0_10empty_typeENS0_5tupleIJPiSF_EEENSH_IJSI_SG_EEENS0_18inequality_wrapperIN6hipcub16HIPCUB_304000_NS8EqualityEEEPlJSF_EEE10hipError_tPvRmT3_T4_T5_T6_T7_T9_mT8_P12ihipStream_tbDpT10_ENKUlT_T0_E_clISt17integral_constantIbLb1EES19_IbLb0EEEEDaS15_S16_EUlS15_E_NS1_11comp_targetILNS1_3genE8ELNS1_11target_archE1030ELNS1_3gpuE2ELNS1_3repE0EEENS1_30default_config_static_selectorELNS0_4arch9wavefront6targetE1EEEvT1_
; %bb.0:
	.section	.rodata,"a",@progbits
	.p2align	6, 0x0
	.amdhsa_kernel _ZN7rocprim17ROCPRIM_400000_NS6detail17trampoline_kernelINS0_14default_configENS1_25partition_config_selectorILNS1_17partition_subalgoE9EiibEEZZNS1_14partition_implILS5_9ELb0ES3_jPKiN6thrust23THRUST_200600_302600_NS17counting_iteratorIiNSB_11use_defaultESD_SD_EEPNS0_10empty_typeENS0_5tupleIJPiSF_EEENSH_IJSI_SG_EEENS0_18inequality_wrapperIN6hipcub16HIPCUB_304000_NS8EqualityEEEPlJSF_EEE10hipError_tPvRmT3_T4_T5_T6_T7_T9_mT8_P12ihipStream_tbDpT10_ENKUlT_T0_E_clISt17integral_constantIbLb1EES19_IbLb0EEEEDaS15_S16_EUlS15_E_NS1_11comp_targetILNS1_3genE8ELNS1_11target_archE1030ELNS1_3gpuE2ELNS1_3repE0EEENS1_30default_config_static_selectorELNS0_4arch9wavefront6targetE1EEEvT1_
		.amdhsa_group_segment_fixed_size 0
		.amdhsa_private_segment_fixed_size 0
		.amdhsa_kernarg_size 112
		.amdhsa_user_sgpr_count 2
		.amdhsa_user_sgpr_dispatch_ptr 0
		.amdhsa_user_sgpr_queue_ptr 0
		.amdhsa_user_sgpr_kernarg_segment_ptr 1
		.amdhsa_user_sgpr_dispatch_id 0
		.amdhsa_user_sgpr_kernarg_preload_length 0
		.amdhsa_user_sgpr_kernarg_preload_offset 0
		.amdhsa_user_sgpr_private_segment_size 0
		.amdhsa_uses_dynamic_stack 0
		.amdhsa_enable_private_segment 0
		.amdhsa_system_sgpr_workgroup_id_x 1
		.amdhsa_system_sgpr_workgroup_id_y 0
		.amdhsa_system_sgpr_workgroup_id_z 0
		.amdhsa_system_sgpr_workgroup_info 0
		.amdhsa_system_vgpr_workitem_id 0
		.amdhsa_next_free_vgpr 1
		.amdhsa_next_free_sgpr 0
		.amdhsa_accum_offset 4
		.amdhsa_reserve_vcc 0
		.amdhsa_float_round_mode_32 0
		.amdhsa_float_round_mode_16_64 0
		.amdhsa_float_denorm_mode_32 3
		.amdhsa_float_denorm_mode_16_64 3
		.amdhsa_dx10_clamp 1
		.amdhsa_ieee_mode 1
		.amdhsa_fp16_overflow 0
		.amdhsa_tg_split 0
		.amdhsa_exception_fp_ieee_invalid_op 0
		.amdhsa_exception_fp_denorm_src 0
		.amdhsa_exception_fp_ieee_div_zero 0
		.amdhsa_exception_fp_ieee_overflow 0
		.amdhsa_exception_fp_ieee_underflow 0
		.amdhsa_exception_fp_ieee_inexact 0
		.amdhsa_exception_int_div_zero 0
	.end_amdhsa_kernel
	.section	.text._ZN7rocprim17ROCPRIM_400000_NS6detail17trampoline_kernelINS0_14default_configENS1_25partition_config_selectorILNS1_17partition_subalgoE9EiibEEZZNS1_14partition_implILS5_9ELb0ES3_jPKiN6thrust23THRUST_200600_302600_NS17counting_iteratorIiNSB_11use_defaultESD_SD_EEPNS0_10empty_typeENS0_5tupleIJPiSF_EEENSH_IJSI_SG_EEENS0_18inequality_wrapperIN6hipcub16HIPCUB_304000_NS8EqualityEEEPlJSF_EEE10hipError_tPvRmT3_T4_T5_T6_T7_T9_mT8_P12ihipStream_tbDpT10_ENKUlT_T0_E_clISt17integral_constantIbLb1EES19_IbLb0EEEEDaS15_S16_EUlS15_E_NS1_11comp_targetILNS1_3genE8ELNS1_11target_archE1030ELNS1_3gpuE2ELNS1_3repE0EEENS1_30default_config_static_selectorELNS0_4arch9wavefront6targetE1EEEvT1_,"axG",@progbits,_ZN7rocprim17ROCPRIM_400000_NS6detail17trampoline_kernelINS0_14default_configENS1_25partition_config_selectorILNS1_17partition_subalgoE9EiibEEZZNS1_14partition_implILS5_9ELb0ES3_jPKiN6thrust23THRUST_200600_302600_NS17counting_iteratorIiNSB_11use_defaultESD_SD_EEPNS0_10empty_typeENS0_5tupleIJPiSF_EEENSH_IJSI_SG_EEENS0_18inequality_wrapperIN6hipcub16HIPCUB_304000_NS8EqualityEEEPlJSF_EEE10hipError_tPvRmT3_T4_T5_T6_T7_T9_mT8_P12ihipStream_tbDpT10_ENKUlT_T0_E_clISt17integral_constantIbLb1EES19_IbLb0EEEEDaS15_S16_EUlS15_E_NS1_11comp_targetILNS1_3genE8ELNS1_11target_archE1030ELNS1_3gpuE2ELNS1_3repE0EEENS1_30default_config_static_selectorELNS0_4arch9wavefront6targetE1EEEvT1_,comdat
.Lfunc_end34:
	.size	_ZN7rocprim17ROCPRIM_400000_NS6detail17trampoline_kernelINS0_14default_configENS1_25partition_config_selectorILNS1_17partition_subalgoE9EiibEEZZNS1_14partition_implILS5_9ELb0ES3_jPKiN6thrust23THRUST_200600_302600_NS17counting_iteratorIiNSB_11use_defaultESD_SD_EEPNS0_10empty_typeENS0_5tupleIJPiSF_EEENSH_IJSI_SG_EEENS0_18inequality_wrapperIN6hipcub16HIPCUB_304000_NS8EqualityEEEPlJSF_EEE10hipError_tPvRmT3_T4_T5_T6_T7_T9_mT8_P12ihipStream_tbDpT10_ENKUlT_T0_E_clISt17integral_constantIbLb1EES19_IbLb0EEEEDaS15_S16_EUlS15_E_NS1_11comp_targetILNS1_3genE8ELNS1_11target_archE1030ELNS1_3gpuE2ELNS1_3repE0EEENS1_30default_config_static_selectorELNS0_4arch9wavefront6targetE1EEEvT1_, .Lfunc_end34-_ZN7rocprim17ROCPRIM_400000_NS6detail17trampoline_kernelINS0_14default_configENS1_25partition_config_selectorILNS1_17partition_subalgoE9EiibEEZZNS1_14partition_implILS5_9ELb0ES3_jPKiN6thrust23THRUST_200600_302600_NS17counting_iteratorIiNSB_11use_defaultESD_SD_EEPNS0_10empty_typeENS0_5tupleIJPiSF_EEENSH_IJSI_SG_EEENS0_18inequality_wrapperIN6hipcub16HIPCUB_304000_NS8EqualityEEEPlJSF_EEE10hipError_tPvRmT3_T4_T5_T6_T7_T9_mT8_P12ihipStream_tbDpT10_ENKUlT_T0_E_clISt17integral_constantIbLb1EES19_IbLb0EEEEDaS15_S16_EUlS15_E_NS1_11comp_targetILNS1_3genE8ELNS1_11target_archE1030ELNS1_3gpuE2ELNS1_3repE0EEENS1_30default_config_static_selectorELNS0_4arch9wavefront6targetE1EEEvT1_
                                        ; -- End function
	.section	.AMDGPU.csdata,"",@progbits
; Kernel info:
; codeLenInByte = 0
; NumSgprs: 6
; NumVgprs: 0
; NumAgprs: 0
; TotalNumVgprs: 0
; ScratchSize: 0
; MemoryBound: 0
; FloatMode: 240
; IeeeMode: 1
; LDSByteSize: 0 bytes/workgroup (compile time only)
; SGPRBlocks: 0
; VGPRBlocks: 0
; NumSGPRsForWavesPerEU: 6
; NumVGPRsForWavesPerEU: 1
; AccumOffset: 4
; Occupancy: 8
; WaveLimiterHint : 0
; COMPUTE_PGM_RSRC2:SCRATCH_EN: 0
; COMPUTE_PGM_RSRC2:USER_SGPR: 2
; COMPUTE_PGM_RSRC2:TRAP_HANDLER: 0
; COMPUTE_PGM_RSRC2:TGID_X_EN: 1
; COMPUTE_PGM_RSRC2:TGID_Y_EN: 0
; COMPUTE_PGM_RSRC2:TGID_Z_EN: 0
; COMPUTE_PGM_RSRC2:TIDIG_COMP_CNT: 0
; COMPUTE_PGM_RSRC3_GFX90A:ACCUM_OFFSET: 0
; COMPUTE_PGM_RSRC3_GFX90A:TG_SPLIT: 0
	.section	.text._ZN7rocprim17ROCPRIM_400000_NS6detail31init_lookback_scan_state_kernelINS1_19lookback_scan_stateIjLb0ELb1EEENS1_16block_id_wrapperIjLb1EEEEEvT_jT0_jPNS7_10value_typeE,"axG",@progbits,_ZN7rocprim17ROCPRIM_400000_NS6detail31init_lookback_scan_state_kernelINS1_19lookback_scan_stateIjLb0ELb1EEENS1_16block_id_wrapperIjLb1EEEEEvT_jT0_jPNS7_10value_typeE,comdat
	.protected	_ZN7rocprim17ROCPRIM_400000_NS6detail31init_lookback_scan_state_kernelINS1_19lookback_scan_stateIjLb0ELb1EEENS1_16block_id_wrapperIjLb1EEEEEvT_jT0_jPNS7_10value_typeE ; -- Begin function _ZN7rocprim17ROCPRIM_400000_NS6detail31init_lookback_scan_state_kernelINS1_19lookback_scan_stateIjLb0ELb1EEENS1_16block_id_wrapperIjLb1EEEEEvT_jT0_jPNS7_10value_typeE
	.globl	_ZN7rocprim17ROCPRIM_400000_NS6detail31init_lookback_scan_state_kernelINS1_19lookback_scan_stateIjLb0ELb1EEENS1_16block_id_wrapperIjLb1EEEEEvT_jT0_jPNS7_10value_typeE
	.p2align	8
	.type	_ZN7rocprim17ROCPRIM_400000_NS6detail31init_lookback_scan_state_kernelINS1_19lookback_scan_stateIjLb0ELb1EEENS1_16block_id_wrapperIjLb1EEEEEvT_jT0_jPNS7_10value_typeE,@function
_ZN7rocprim17ROCPRIM_400000_NS6detail31init_lookback_scan_state_kernelINS1_19lookback_scan_stateIjLb0ELb1EEENS1_16block_id_wrapperIjLb1EEEEEvT_jT0_jPNS7_10value_typeE: ; @_ZN7rocprim17ROCPRIM_400000_NS6detail31init_lookback_scan_state_kernelINS1_19lookback_scan_stateIjLb0ELb1EEENS1_16block_id_wrapperIjLb1EEEEEvT_jT0_jPNS7_10value_typeE
; %bb.0:
	s_load_dword s3, s[0:1], 0x34
	s_load_dwordx2 s[6:7], s[0:1], 0x20
	s_load_dwordx2 s[4:5], s[0:1], 0x0
	s_load_dword s10, s[0:1], 0x8
	s_waitcnt lgkmcnt(0)
	s_and_b32 s3, s3, 0xffff
	s_mul_i32 s2, s2, s3
	s_cmp_eq_u64 s[6:7], 0
	v_add_u32_e32 v0, s2, v0
	s_cbranch_scc1 .LBB35_6
; %bb.1:
	s_load_dword s8, s[0:1], 0x18
	s_mov_b32 s9, 0
	s_waitcnt lgkmcnt(0)
	s_cmp_lt_u32 s8, s10
	s_cselect_b32 s2, s8, 0
	v_cmp_eq_u32_e32 vcc, s2, v0
	s_and_saveexec_b64 s[2:3], vcc
	s_cbranch_execz .LBB35_5
; %bb.2:
	s_add_i32 s8, s8, 64
	s_lshl_b64 s[8:9], s[8:9], 3
	s_add_u32 s8, s4, s8
	s_addc_u32 s9, s5, s9
	v_mov_b32_e32 v4, 0
	global_load_dwordx2 v[2:3], v4, s[8:9] sc1
	s_waitcnt vmcnt(0)
	v_and_b32_e32 v5, 0xff, v3
	v_cmp_ne_u64_e32 vcc, 0, v[4:5]
	s_cbranch_vccnz .LBB35_4
.LBB35_3:                               ; =>This Inner Loop Header: Depth=1
	global_load_dwordx2 v[2:3], v4, s[8:9] sc1
	s_waitcnt vmcnt(0)
	v_and_b32_e32 v5, 0xff, v3
	v_cmp_eq_u64_e32 vcc, 0, v[4:5]
	s_cbranch_vccnz .LBB35_3
.LBB35_4:
	v_mov_b32_e32 v1, 0
	global_store_dword v1, v2, s[6:7]
.LBB35_5:
	s_or_b64 exec, exec, s[2:3]
.LBB35_6:
	v_cmp_eq_u32_e32 vcc, 0, v0
	s_and_saveexec_b64 s[2:3], vcc
	s_cbranch_execnz .LBB35_10
; %bb.7:
	s_or_b64 exec, exec, s[2:3]
	v_cmp_gt_u32_e32 vcc, s10, v0
	s_and_saveexec_b64 s[0:1], vcc
	s_cbranch_execnz .LBB35_11
.LBB35_8:
	s_or_b64 exec, exec, s[0:1]
	v_cmp_gt_u32_e32 vcc, 64, v0
	s_and_saveexec_b64 s[0:1], vcc
	s_cbranch_execnz .LBB35_12
.LBB35_9:
	s_endpgm
.LBB35_10:
	s_load_dwordx2 s[0:1], s[0:1], 0x10
	v_mov_b32_e32 v1, 0
	s_waitcnt lgkmcnt(0)
	global_store_dword v1, v1, s[0:1]
	s_or_b64 exec, exec, s[2:3]
	v_cmp_gt_u32_e32 vcc, s10, v0
	s_and_saveexec_b64 s[0:1], vcc
	s_cbranch_execz .LBB35_8
.LBB35_11:
	v_add_u32_e32 v2, 64, v0
	v_mov_b32_e32 v3, 0
	v_lshl_add_u64 v[4:5], v[2:3], 3, s[4:5]
	v_mov_b32_e32 v2, v3
	global_store_dwordx2 v[4:5], v[2:3], off
	s_or_b64 exec, exec, s[0:1]
	v_cmp_gt_u32_e32 vcc, 64, v0
	s_and_saveexec_b64 s[0:1], vcc
	s_cbranch_execz .LBB35_9
.LBB35_12:
	v_mov_b32_e32 v1, 0
	v_lshl_add_u64 v[2:3], v[0:1], 3, s[4:5]
	v_mov_b32_e32 v5, 0xff
	v_mov_b32_e32 v4, v1
	global_store_dwordx2 v[2:3], v[4:5], off
	s_endpgm
	.section	.rodata,"a",@progbits
	.p2align	6, 0x0
	.amdhsa_kernel _ZN7rocprim17ROCPRIM_400000_NS6detail31init_lookback_scan_state_kernelINS1_19lookback_scan_stateIjLb0ELb1EEENS1_16block_id_wrapperIjLb1EEEEEvT_jT0_jPNS7_10value_typeE
		.amdhsa_group_segment_fixed_size 0
		.amdhsa_private_segment_fixed_size 0
		.amdhsa_kernarg_size 296
		.amdhsa_user_sgpr_count 2
		.amdhsa_user_sgpr_dispatch_ptr 0
		.amdhsa_user_sgpr_queue_ptr 0
		.amdhsa_user_sgpr_kernarg_segment_ptr 1
		.amdhsa_user_sgpr_dispatch_id 0
		.amdhsa_user_sgpr_kernarg_preload_length 0
		.amdhsa_user_sgpr_kernarg_preload_offset 0
		.amdhsa_user_sgpr_private_segment_size 0
		.amdhsa_uses_dynamic_stack 0
		.amdhsa_enable_private_segment 0
		.amdhsa_system_sgpr_workgroup_id_x 1
		.amdhsa_system_sgpr_workgroup_id_y 0
		.amdhsa_system_sgpr_workgroup_id_z 0
		.amdhsa_system_sgpr_workgroup_info 0
		.amdhsa_system_vgpr_workitem_id 0
		.amdhsa_next_free_vgpr 6
		.amdhsa_next_free_sgpr 11
		.amdhsa_accum_offset 8
		.amdhsa_reserve_vcc 1
		.amdhsa_float_round_mode_32 0
		.amdhsa_float_round_mode_16_64 0
		.amdhsa_float_denorm_mode_32 3
		.amdhsa_float_denorm_mode_16_64 3
		.amdhsa_dx10_clamp 1
		.amdhsa_ieee_mode 1
		.amdhsa_fp16_overflow 0
		.amdhsa_tg_split 0
		.amdhsa_exception_fp_ieee_invalid_op 0
		.amdhsa_exception_fp_denorm_src 0
		.amdhsa_exception_fp_ieee_div_zero 0
		.amdhsa_exception_fp_ieee_overflow 0
		.amdhsa_exception_fp_ieee_underflow 0
		.amdhsa_exception_fp_ieee_inexact 0
		.amdhsa_exception_int_div_zero 0
	.end_amdhsa_kernel
	.section	.text._ZN7rocprim17ROCPRIM_400000_NS6detail31init_lookback_scan_state_kernelINS1_19lookback_scan_stateIjLb0ELb1EEENS1_16block_id_wrapperIjLb1EEEEEvT_jT0_jPNS7_10value_typeE,"axG",@progbits,_ZN7rocprim17ROCPRIM_400000_NS6detail31init_lookback_scan_state_kernelINS1_19lookback_scan_stateIjLb0ELb1EEENS1_16block_id_wrapperIjLb1EEEEEvT_jT0_jPNS7_10value_typeE,comdat
.Lfunc_end35:
	.size	_ZN7rocprim17ROCPRIM_400000_NS6detail31init_lookback_scan_state_kernelINS1_19lookback_scan_stateIjLb0ELb1EEENS1_16block_id_wrapperIjLb1EEEEEvT_jT0_jPNS7_10value_typeE, .Lfunc_end35-_ZN7rocprim17ROCPRIM_400000_NS6detail31init_lookback_scan_state_kernelINS1_19lookback_scan_stateIjLb0ELb1EEENS1_16block_id_wrapperIjLb1EEEEEvT_jT0_jPNS7_10value_typeE
                                        ; -- End function
	.section	.AMDGPU.csdata,"",@progbits
; Kernel info:
; codeLenInByte = 356
; NumSgprs: 17
; NumVgprs: 6
; NumAgprs: 0
; TotalNumVgprs: 6
; ScratchSize: 0
; MemoryBound: 0
; FloatMode: 240
; IeeeMode: 1
; LDSByteSize: 0 bytes/workgroup (compile time only)
; SGPRBlocks: 2
; VGPRBlocks: 0
; NumSGPRsForWavesPerEU: 17
; NumVGPRsForWavesPerEU: 6
; AccumOffset: 8
; Occupancy: 8
; WaveLimiterHint : 0
; COMPUTE_PGM_RSRC2:SCRATCH_EN: 0
; COMPUTE_PGM_RSRC2:USER_SGPR: 2
; COMPUTE_PGM_RSRC2:TRAP_HANDLER: 0
; COMPUTE_PGM_RSRC2:TGID_X_EN: 1
; COMPUTE_PGM_RSRC2:TGID_Y_EN: 0
; COMPUTE_PGM_RSRC2:TGID_Z_EN: 0
; COMPUTE_PGM_RSRC2:TIDIG_COMP_CNT: 0
; COMPUTE_PGM_RSRC3_GFX90A:ACCUM_OFFSET: 1
; COMPUTE_PGM_RSRC3_GFX90A:TG_SPLIT: 0
	.section	.text._ZN7rocprim17ROCPRIM_400000_NS6detail17trampoline_kernelINS0_14default_configENS1_25partition_config_selectorILNS1_17partition_subalgoE9EiibEEZZNS1_14partition_implILS5_9ELb0ES3_jPKiN6thrust23THRUST_200600_302600_NS17counting_iteratorIiNSB_11use_defaultESD_SD_EEPNS0_10empty_typeENS0_5tupleIJPiSF_EEENSH_IJSI_SG_EEENS0_18inequality_wrapperIN6hipcub16HIPCUB_304000_NS8EqualityEEEPlJSF_EEE10hipError_tPvRmT3_T4_T5_T6_T7_T9_mT8_P12ihipStream_tbDpT10_ENKUlT_T0_E_clISt17integral_constantIbLb0EES19_IbLb1EEEEDaS15_S16_EUlS15_E_NS1_11comp_targetILNS1_3genE0ELNS1_11target_archE4294967295ELNS1_3gpuE0ELNS1_3repE0EEENS1_30default_config_static_selectorELNS0_4arch9wavefront6targetE1EEEvT1_,"axG",@progbits,_ZN7rocprim17ROCPRIM_400000_NS6detail17trampoline_kernelINS0_14default_configENS1_25partition_config_selectorILNS1_17partition_subalgoE9EiibEEZZNS1_14partition_implILS5_9ELb0ES3_jPKiN6thrust23THRUST_200600_302600_NS17counting_iteratorIiNSB_11use_defaultESD_SD_EEPNS0_10empty_typeENS0_5tupleIJPiSF_EEENSH_IJSI_SG_EEENS0_18inequality_wrapperIN6hipcub16HIPCUB_304000_NS8EqualityEEEPlJSF_EEE10hipError_tPvRmT3_T4_T5_T6_T7_T9_mT8_P12ihipStream_tbDpT10_ENKUlT_T0_E_clISt17integral_constantIbLb0EES19_IbLb1EEEEDaS15_S16_EUlS15_E_NS1_11comp_targetILNS1_3genE0ELNS1_11target_archE4294967295ELNS1_3gpuE0ELNS1_3repE0EEENS1_30default_config_static_selectorELNS0_4arch9wavefront6targetE1EEEvT1_,comdat
	.protected	_ZN7rocprim17ROCPRIM_400000_NS6detail17trampoline_kernelINS0_14default_configENS1_25partition_config_selectorILNS1_17partition_subalgoE9EiibEEZZNS1_14partition_implILS5_9ELb0ES3_jPKiN6thrust23THRUST_200600_302600_NS17counting_iteratorIiNSB_11use_defaultESD_SD_EEPNS0_10empty_typeENS0_5tupleIJPiSF_EEENSH_IJSI_SG_EEENS0_18inequality_wrapperIN6hipcub16HIPCUB_304000_NS8EqualityEEEPlJSF_EEE10hipError_tPvRmT3_T4_T5_T6_T7_T9_mT8_P12ihipStream_tbDpT10_ENKUlT_T0_E_clISt17integral_constantIbLb0EES19_IbLb1EEEEDaS15_S16_EUlS15_E_NS1_11comp_targetILNS1_3genE0ELNS1_11target_archE4294967295ELNS1_3gpuE0ELNS1_3repE0EEENS1_30default_config_static_selectorELNS0_4arch9wavefront6targetE1EEEvT1_ ; -- Begin function _ZN7rocprim17ROCPRIM_400000_NS6detail17trampoline_kernelINS0_14default_configENS1_25partition_config_selectorILNS1_17partition_subalgoE9EiibEEZZNS1_14partition_implILS5_9ELb0ES3_jPKiN6thrust23THRUST_200600_302600_NS17counting_iteratorIiNSB_11use_defaultESD_SD_EEPNS0_10empty_typeENS0_5tupleIJPiSF_EEENSH_IJSI_SG_EEENS0_18inequality_wrapperIN6hipcub16HIPCUB_304000_NS8EqualityEEEPlJSF_EEE10hipError_tPvRmT3_T4_T5_T6_T7_T9_mT8_P12ihipStream_tbDpT10_ENKUlT_T0_E_clISt17integral_constantIbLb0EES19_IbLb1EEEEDaS15_S16_EUlS15_E_NS1_11comp_targetILNS1_3genE0ELNS1_11target_archE4294967295ELNS1_3gpuE0ELNS1_3repE0EEENS1_30default_config_static_selectorELNS0_4arch9wavefront6targetE1EEEvT1_
	.globl	_ZN7rocprim17ROCPRIM_400000_NS6detail17trampoline_kernelINS0_14default_configENS1_25partition_config_selectorILNS1_17partition_subalgoE9EiibEEZZNS1_14partition_implILS5_9ELb0ES3_jPKiN6thrust23THRUST_200600_302600_NS17counting_iteratorIiNSB_11use_defaultESD_SD_EEPNS0_10empty_typeENS0_5tupleIJPiSF_EEENSH_IJSI_SG_EEENS0_18inequality_wrapperIN6hipcub16HIPCUB_304000_NS8EqualityEEEPlJSF_EEE10hipError_tPvRmT3_T4_T5_T6_T7_T9_mT8_P12ihipStream_tbDpT10_ENKUlT_T0_E_clISt17integral_constantIbLb0EES19_IbLb1EEEEDaS15_S16_EUlS15_E_NS1_11comp_targetILNS1_3genE0ELNS1_11target_archE4294967295ELNS1_3gpuE0ELNS1_3repE0EEENS1_30default_config_static_selectorELNS0_4arch9wavefront6targetE1EEEvT1_
	.p2align	8
	.type	_ZN7rocprim17ROCPRIM_400000_NS6detail17trampoline_kernelINS0_14default_configENS1_25partition_config_selectorILNS1_17partition_subalgoE9EiibEEZZNS1_14partition_implILS5_9ELb0ES3_jPKiN6thrust23THRUST_200600_302600_NS17counting_iteratorIiNSB_11use_defaultESD_SD_EEPNS0_10empty_typeENS0_5tupleIJPiSF_EEENSH_IJSI_SG_EEENS0_18inequality_wrapperIN6hipcub16HIPCUB_304000_NS8EqualityEEEPlJSF_EEE10hipError_tPvRmT3_T4_T5_T6_T7_T9_mT8_P12ihipStream_tbDpT10_ENKUlT_T0_E_clISt17integral_constantIbLb0EES19_IbLb1EEEEDaS15_S16_EUlS15_E_NS1_11comp_targetILNS1_3genE0ELNS1_11target_archE4294967295ELNS1_3gpuE0ELNS1_3repE0EEENS1_30default_config_static_selectorELNS0_4arch9wavefront6targetE1EEEvT1_,@function
_ZN7rocprim17ROCPRIM_400000_NS6detail17trampoline_kernelINS0_14default_configENS1_25partition_config_selectorILNS1_17partition_subalgoE9EiibEEZZNS1_14partition_implILS5_9ELb0ES3_jPKiN6thrust23THRUST_200600_302600_NS17counting_iteratorIiNSB_11use_defaultESD_SD_EEPNS0_10empty_typeENS0_5tupleIJPiSF_EEENSH_IJSI_SG_EEENS0_18inequality_wrapperIN6hipcub16HIPCUB_304000_NS8EqualityEEEPlJSF_EEE10hipError_tPvRmT3_T4_T5_T6_T7_T9_mT8_P12ihipStream_tbDpT10_ENKUlT_T0_E_clISt17integral_constantIbLb0EES19_IbLb1EEEEDaS15_S16_EUlS15_E_NS1_11comp_targetILNS1_3genE0ELNS1_11target_archE4294967295ELNS1_3gpuE0ELNS1_3repE0EEENS1_30default_config_static_selectorELNS0_4arch9wavefront6targetE1EEEvT1_: ; @_ZN7rocprim17ROCPRIM_400000_NS6detail17trampoline_kernelINS0_14default_configENS1_25partition_config_selectorILNS1_17partition_subalgoE9EiibEEZZNS1_14partition_implILS5_9ELb0ES3_jPKiN6thrust23THRUST_200600_302600_NS17counting_iteratorIiNSB_11use_defaultESD_SD_EEPNS0_10empty_typeENS0_5tupleIJPiSF_EEENSH_IJSI_SG_EEENS0_18inequality_wrapperIN6hipcub16HIPCUB_304000_NS8EqualityEEEPlJSF_EEE10hipError_tPvRmT3_T4_T5_T6_T7_T9_mT8_P12ihipStream_tbDpT10_ENKUlT_T0_E_clISt17integral_constantIbLb0EES19_IbLb1EEEEDaS15_S16_EUlS15_E_NS1_11comp_targetILNS1_3genE0ELNS1_11target_archE4294967295ELNS1_3gpuE0ELNS1_3repE0EEENS1_30default_config_static_selectorELNS0_4arch9wavefront6targetE1EEEvT1_
; %bb.0:
	.section	.rodata,"a",@progbits
	.p2align	6, 0x0
	.amdhsa_kernel _ZN7rocprim17ROCPRIM_400000_NS6detail17trampoline_kernelINS0_14default_configENS1_25partition_config_selectorILNS1_17partition_subalgoE9EiibEEZZNS1_14partition_implILS5_9ELb0ES3_jPKiN6thrust23THRUST_200600_302600_NS17counting_iteratorIiNSB_11use_defaultESD_SD_EEPNS0_10empty_typeENS0_5tupleIJPiSF_EEENSH_IJSI_SG_EEENS0_18inequality_wrapperIN6hipcub16HIPCUB_304000_NS8EqualityEEEPlJSF_EEE10hipError_tPvRmT3_T4_T5_T6_T7_T9_mT8_P12ihipStream_tbDpT10_ENKUlT_T0_E_clISt17integral_constantIbLb0EES19_IbLb1EEEEDaS15_S16_EUlS15_E_NS1_11comp_targetILNS1_3genE0ELNS1_11target_archE4294967295ELNS1_3gpuE0ELNS1_3repE0EEENS1_30default_config_static_selectorELNS0_4arch9wavefront6targetE1EEEvT1_
		.amdhsa_group_segment_fixed_size 0
		.amdhsa_private_segment_fixed_size 0
		.amdhsa_kernarg_size 128
		.amdhsa_user_sgpr_count 2
		.amdhsa_user_sgpr_dispatch_ptr 0
		.amdhsa_user_sgpr_queue_ptr 0
		.amdhsa_user_sgpr_kernarg_segment_ptr 1
		.amdhsa_user_sgpr_dispatch_id 0
		.amdhsa_user_sgpr_kernarg_preload_length 0
		.amdhsa_user_sgpr_kernarg_preload_offset 0
		.amdhsa_user_sgpr_private_segment_size 0
		.amdhsa_uses_dynamic_stack 0
		.amdhsa_enable_private_segment 0
		.amdhsa_system_sgpr_workgroup_id_x 1
		.amdhsa_system_sgpr_workgroup_id_y 0
		.amdhsa_system_sgpr_workgroup_id_z 0
		.amdhsa_system_sgpr_workgroup_info 0
		.amdhsa_system_vgpr_workitem_id 0
		.amdhsa_next_free_vgpr 1
		.amdhsa_next_free_sgpr 0
		.amdhsa_accum_offset 4
		.amdhsa_reserve_vcc 0
		.amdhsa_float_round_mode_32 0
		.amdhsa_float_round_mode_16_64 0
		.amdhsa_float_denorm_mode_32 3
		.amdhsa_float_denorm_mode_16_64 3
		.amdhsa_dx10_clamp 1
		.amdhsa_ieee_mode 1
		.amdhsa_fp16_overflow 0
		.amdhsa_tg_split 0
		.amdhsa_exception_fp_ieee_invalid_op 0
		.amdhsa_exception_fp_denorm_src 0
		.amdhsa_exception_fp_ieee_div_zero 0
		.amdhsa_exception_fp_ieee_overflow 0
		.amdhsa_exception_fp_ieee_underflow 0
		.amdhsa_exception_fp_ieee_inexact 0
		.amdhsa_exception_int_div_zero 0
	.end_amdhsa_kernel
	.section	.text._ZN7rocprim17ROCPRIM_400000_NS6detail17trampoline_kernelINS0_14default_configENS1_25partition_config_selectorILNS1_17partition_subalgoE9EiibEEZZNS1_14partition_implILS5_9ELb0ES3_jPKiN6thrust23THRUST_200600_302600_NS17counting_iteratorIiNSB_11use_defaultESD_SD_EEPNS0_10empty_typeENS0_5tupleIJPiSF_EEENSH_IJSI_SG_EEENS0_18inequality_wrapperIN6hipcub16HIPCUB_304000_NS8EqualityEEEPlJSF_EEE10hipError_tPvRmT3_T4_T5_T6_T7_T9_mT8_P12ihipStream_tbDpT10_ENKUlT_T0_E_clISt17integral_constantIbLb0EES19_IbLb1EEEEDaS15_S16_EUlS15_E_NS1_11comp_targetILNS1_3genE0ELNS1_11target_archE4294967295ELNS1_3gpuE0ELNS1_3repE0EEENS1_30default_config_static_selectorELNS0_4arch9wavefront6targetE1EEEvT1_,"axG",@progbits,_ZN7rocprim17ROCPRIM_400000_NS6detail17trampoline_kernelINS0_14default_configENS1_25partition_config_selectorILNS1_17partition_subalgoE9EiibEEZZNS1_14partition_implILS5_9ELb0ES3_jPKiN6thrust23THRUST_200600_302600_NS17counting_iteratorIiNSB_11use_defaultESD_SD_EEPNS0_10empty_typeENS0_5tupleIJPiSF_EEENSH_IJSI_SG_EEENS0_18inequality_wrapperIN6hipcub16HIPCUB_304000_NS8EqualityEEEPlJSF_EEE10hipError_tPvRmT3_T4_T5_T6_T7_T9_mT8_P12ihipStream_tbDpT10_ENKUlT_T0_E_clISt17integral_constantIbLb0EES19_IbLb1EEEEDaS15_S16_EUlS15_E_NS1_11comp_targetILNS1_3genE0ELNS1_11target_archE4294967295ELNS1_3gpuE0ELNS1_3repE0EEENS1_30default_config_static_selectorELNS0_4arch9wavefront6targetE1EEEvT1_,comdat
.Lfunc_end36:
	.size	_ZN7rocprim17ROCPRIM_400000_NS6detail17trampoline_kernelINS0_14default_configENS1_25partition_config_selectorILNS1_17partition_subalgoE9EiibEEZZNS1_14partition_implILS5_9ELb0ES3_jPKiN6thrust23THRUST_200600_302600_NS17counting_iteratorIiNSB_11use_defaultESD_SD_EEPNS0_10empty_typeENS0_5tupleIJPiSF_EEENSH_IJSI_SG_EEENS0_18inequality_wrapperIN6hipcub16HIPCUB_304000_NS8EqualityEEEPlJSF_EEE10hipError_tPvRmT3_T4_T5_T6_T7_T9_mT8_P12ihipStream_tbDpT10_ENKUlT_T0_E_clISt17integral_constantIbLb0EES19_IbLb1EEEEDaS15_S16_EUlS15_E_NS1_11comp_targetILNS1_3genE0ELNS1_11target_archE4294967295ELNS1_3gpuE0ELNS1_3repE0EEENS1_30default_config_static_selectorELNS0_4arch9wavefront6targetE1EEEvT1_, .Lfunc_end36-_ZN7rocprim17ROCPRIM_400000_NS6detail17trampoline_kernelINS0_14default_configENS1_25partition_config_selectorILNS1_17partition_subalgoE9EiibEEZZNS1_14partition_implILS5_9ELb0ES3_jPKiN6thrust23THRUST_200600_302600_NS17counting_iteratorIiNSB_11use_defaultESD_SD_EEPNS0_10empty_typeENS0_5tupleIJPiSF_EEENSH_IJSI_SG_EEENS0_18inequality_wrapperIN6hipcub16HIPCUB_304000_NS8EqualityEEEPlJSF_EEE10hipError_tPvRmT3_T4_T5_T6_T7_T9_mT8_P12ihipStream_tbDpT10_ENKUlT_T0_E_clISt17integral_constantIbLb0EES19_IbLb1EEEEDaS15_S16_EUlS15_E_NS1_11comp_targetILNS1_3genE0ELNS1_11target_archE4294967295ELNS1_3gpuE0ELNS1_3repE0EEENS1_30default_config_static_selectorELNS0_4arch9wavefront6targetE1EEEvT1_
                                        ; -- End function
	.section	.AMDGPU.csdata,"",@progbits
; Kernel info:
; codeLenInByte = 0
; NumSgprs: 6
; NumVgprs: 0
; NumAgprs: 0
; TotalNumVgprs: 0
; ScratchSize: 0
; MemoryBound: 0
; FloatMode: 240
; IeeeMode: 1
; LDSByteSize: 0 bytes/workgroup (compile time only)
; SGPRBlocks: 0
; VGPRBlocks: 0
; NumSGPRsForWavesPerEU: 6
; NumVGPRsForWavesPerEU: 1
; AccumOffset: 4
; Occupancy: 8
; WaveLimiterHint : 0
; COMPUTE_PGM_RSRC2:SCRATCH_EN: 0
; COMPUTE_PGM_RSRC2:USER_SGPR: 2
; COMPUTE_PGM_RSRC2:TRAP_HANDLER: 0
; COMPUTE_PGM_RSRC2:TGID_X_EN: 1
; COMPUTE_PGM_RSRC2:TGID_Y_EN: 0
; COMPUTE_PGM_RSRC2:TGID_Z_EN: 0
; COMPUTE_PGM_RSRC2:TIDIG_COMP_CNT: 0
; COMPUTE_PGM_RSRC3_GFX90A:ACCUM_OFFSET: 0
; COMPUTE_PGM_RSRC3_GFX90A:TG_SPLIT: 0
	.section	.text._ZN7rocprim17ROCPRIM_400000_NS6detail17trampoline_kernelINS0_14default_configENS1_25partition_config_selectorILNS1_17partition_subalgoE9EiibEEZZNS1_14partition_implILS5_9ELb0ES3_jPKiN6thrust23THRUST_200600_302600_NS17counting_iteratorIiNSB_11use_defaultESD_SD_EEPNS0_10empty_typeENS0_5tupleIJPiSF_EEENSH_IJSI_SG_EEENS0_18inequality_wrapperIN6hipcub16HIPCUB_304000_NS8EqualityEEEPlJSF_EEE10hipError_tPvRmT3_T4_T5_T6_T7_T9_mT8_P12ihipStream_tbDpT10_ENKUlT_T0_E_clISt17integral_constantIbLb0EES19_IbLb1EEEEDaS15_S16_EUlS15_E_NS1_11comp_targetILNS1_3genE5ELNS1_11target_archE942ELNS1_3gpuE9ELNS1_3repE0EEENS1_30default_config_static_selectorELNS0_4arch9wavefront6targetE1EEEvT1_,"axG",@progbits,_ZN7rocprim17ROCPRIM_400000_NS6detail17trampoline_kernelINS0_14default_configENS1_25partition_config_selectorILNS1_17partition_subalgoE9EiibEEZZNS1_14partition_implILS5_9ELb0ES3_jPKiN6thrust23THRUST_200600_302600_NS17counting_iteratorIiNSB_11use_defaultESD_SD_EEPNS0_10empty_typeENS0_5tupleIJPiSF_EEENSH_IJSI_SG_EEENS0_18inequality_wrapperIN6hipcub16HIPCUB_304000_NS8EqualityEEEPlJSF_EEE10hipError_tPvRmT3_T4_T5_T6_T7_T9_mT8_P12ihipStream_tbDpT10_ENKUlT_T0_E_clISt17integral_constantIbLb0EES19_IbLb1EEEEDaS15_S16_EUlS15_E_NS1_11comp_targetILNS1_3genE5ELNS1_11target_archE942ELNS1_3gpuE9ELNS1_3repE0EEENS1_30default_config_static_selectorELNS0_4arch9wavefront6targetE1EEEvT1_,comdat
	.protected	_ZN7rocprim17ROCPRIM_400000_NS6detail17trampoline_kernelINS0_14default_configENS1_25partition_config_selectorILNS1_17partition_subalgoE9EiibEEZZNS1_14partition_implILS5_9ELb0ES3_jPKiN6thrust23THRUST_200600_302600_NS17counting_iteratorIiNSB_11use_defaultESD_SD_EEPNS0_10empty_typeENS0_5tupleIJPiSF_EEENSH_IJSI_SG_EEENS0_18inequality_wrapperIN6hipcub16HIPCUB_304000_NS8EqualityEEEPlJSF_EEE10hipError_tPvRmT3_T4_T5_T6_T7_T9_mT8_P12ihipStream_tbDpT10_ENKUlT_T0_E_clISt17integral_constantIbLb0EES19_IbLb1EEEEDaS15_S16_EUlS15_E_NS1_11comp_targetILNS1_3genE5ELNS1_11target_archE942ELNS1_3gpuE9ELNS1_3repE0EEENS1_30default_config_static_selectorELNS0_4arch9wavefront6targetE1EEEvT1_ ; -- Begin function _ZN7rocprim17ROCPRIM_400000_NS6detail17trampoline_kernelINS0_14default_configENS1_25partition_config_selectorILNS1_17partition_subalgoE9EiibEEZZNS1_14partition_implILS5_9ELb0ES3_jPKiN6thrust23THRUST_200600_302600_NS17counting_iteratorIiNSB_11use_defaultESD_SD_EEPNS0_10empty_typeENS0_5tupleIJPiSF_EEENSH_IJSI_SG_EEENS0_18inequality_wrapperIN6hipcub16HIPCUB_304000_NS8EqualityEEEPlJSF_EEE10hipError_tPvRmT3_T4_T5_T6_T7_T9_mT8_P12ihipStream_tbDpT10_ENKUlT_T0_E_clISt17integral_constantIbLb0EES19_IbLb1EEEEDaS15_S16_EUlS15_E_NS1_11comp_targetILNS1_3genE5ELNS1_11target_archE942ELNS1_3gpuE9ELNS1_3repE0EEENS1_30default_config_static_selectorELNS0_4arch9wavefront6targetE1EEEvT1_
	.globl	_ZN7rocprim17ROCPRIM_400000_NS6detail17trampoline_kernelINS0_14default_configENS1_25partition_config_selectorILNS1_17partition_subalgoE9EiibEEZZNS1_14partition_implILS5_9ELb0ES3_jPKiN6thrust23THRUST_200600_302600_NS17counting_iteratorIiNSB_11use_defaultESD_SD_EEPNS0_10empty_typeENS0_5tupleIJPiSF_EEENSH_IJSI_SG_EEENS0_18inequality_wrapperIN6hipcub16HIPCUB_304000_NS8EqualityEEEPlJSF_EEE10hipError_tPvRmT3_T4_T5_T6_T7_T9_mT8_P12ihipStream_tbDpT10_ENKUlT_T0_E_clISt17integral_constantIbLb0EES19_IbLb1EEEEDaS15_S16_EUlS15_E_NS1_11comp_targetILNS1_3genE5ELNS1_11target_archE942ELNS1_3gpuE9ELNS1_3repE0EEENS1_30default_config_static_selectorELNS0_4arch9wavefront6targetE1EEEvT1_
	.p2align	8
	.type	_ZN7rocprim17ROCPRIM_400000_NS6detail17trampoline_kernelINS0_14default_configENS1_25partition_config_selectorILNS1_17partition_subalgoE9EiibEEZZNS1_14partition_implILS5_9ELb0ES3_jPKiN6thrust23THRUST_200600_302600_NS17counting_iteratorIiNSB_11use_defaultESD_SD_EEPNS0_10empty_typeENS0_5tupleIJPiSF_EEENSH_IJSI_SG_EEENS0_18inequality_wrapperIN6hipcub16HIPCUB_304000_NS8EqualityEEEPlJSF_EEE10hipError_tPvRmT3_T4_T5_T6_T7_T9_mT8_P12ihipStream_tbDpT10_ENKUlT_T0_E_clISt17integral_constantIbLb0EES19_IbLb1EEEEDaS15_S16_EUlS15_E_NS1_11comp_targetILNS1_3genE5ELNS1_11target_archE942ELNS1_3gpuE9ELNS1_3repE0EEENS1_30default_config_static_selectorELNS0_4arch9wavefront6targetE1EEEvT1_,@function
_ZN7rocprim17ROCPRIM_400000_NS6detail17trampoline_kernelINS0_14default_configENS1_25partition_config_selectorILNS1_17partition_subalgoE9EiibEEZZNS1_14partition_implILS5_9ELb0ES3_jPKiN6thrust23THRUST_200600_302600_NS17counting_iteratorIiNSB_11use_defaultESD_SD_EEPNS0_10empty_typeENS0_5tupleIJPiSF_EEENSH_IJSI_SG_EEENS0_18inequality_wrapperIN6hipcub16HIPCUB_304000_NS8EqualityEEEPlJSF_EEE10hipError_tPvRmT3_T4_T5_T6_T7_T9_mT8_P12ihipStream_tbDpT10_ENKUlT_T0_E_clISt17integral_constantIbLb0EES19_IbLb1EEEEDaS15_S16_EUlS15_E_NS1_11comp_targetILNS1_3genE5ELNS1_11target_archE942ELNS1_3gpuE9ELNS1_3repE0EEENS1_30default_config_static_selectorELNS0_4arch9wavefront6targetE1EEEvT1_: ; @_ZN7rocprim17ROCPRIM_400000_NS6detail17trampoline_kernelINS0_14default_configENS1_25partition_config_selectorILNS1_17partition_subalgoE9EiibEEZZNS1_14partition_implILS5_9ELb0ES3_jPKiN6thrust23THRUST_200600_302600_NS17counting_iteratorIiNSB_11use_defaultESD_SD_EEPNS0_10empty_typeENS0_5tupleIJPiSF_EEENSH_IJSI_SG_EEENS0_18inequality_wrapperIN6hipcub16HIPCUB_304000_NS8EqualityEEEPlJSF_EEE10hipError_tPvRmT3_T4_T5_T6_T7_T9_mT8_P12ihipStream_tbDpT10_ENKUlT_T0_E_clISt17integral_constantIbLb0EES19_IbLb1EEEEDaS15_S16_EUlS15_E_NS1_11comp_targetILNS1_3genE5ELNS1_11target_archE942ELNS1_3gpuE9ELNS1_3repE0EEENS1_30default_config_static_selectorELNS0_4arch9wavefront6targetE1EEEvT1_
; %bb.0:
	s_load_dwordx4 s[36:39], s[0:1], 0x40
	s_load_dwordx2 s[8:9], s[0:1], 0x50
	s_load_dwordx2 s[44:45], s[0:1], 0x60
	v_cmp_ne_u32_e64 s[2:3], 0, v0
	v_cmp_eq_u32_e64 s[18:19], 0, v0
	s_and_saveexec_b64 s[4:5], s[18:19]
	s_cbranch_execz .LBB37_4
; %bb.1:
	s_mov_b64 s[10:11], exec
	v_mbcnt_lo_u32_b32 v1, s10, 0
	v_mbcnt_hi_u32_b32 v1, s11, v1
	v_cmp_eq_u32_e32 vcc, 0, v1
                                        ; implicit-def: $vgpr2
	s_and_saveexec_b64 s[6:7], vcc
	s_cbranch_execz .LBB37_3
; %bb.2:
	s_load_dwordx2 s[12:13], s[0:1], 0x70
	s_bcnt1_i32_b64 s10, s[10:11]
	v_mov_b32_e32 v2, 0
	v_mov_b32_e32 v3, s10
	s_waitcnt lgkmcnt(0)
	global_atomic_add v2, v2, v3, s[12:13] sc0
.LBB37_3:
	s_or_b64 exec, exec, s[6:7]
	s_waitcnt vmcnt(0)
	v_readfirstlane_b32 s6, v2
	v_mov_b32_e32 v2, 0
	s_nop 0
	v_add_u32_e32 v1, s6, v1
	ds_write_b32 v2, v1
.LBB37_4:
	s_or_b64 exec, exec, s[4:5]
	v_mov_b32_e32 v3, 0
	s_load_dwordx4 s[4:7], s[0:1], 0x8
	s_load_dword s10, s[0:1], 0x18
	s_load_dwordx4 s[40:43], s[0:1], 0x28
	s_load_dword s11, s[0:1], 0x68
	s_waitcnt lgkmcnt(0)
	s_barrier
	ds_read_b32 v1, v3
	s_waitcnt lgkmcnt(0)
	s_barrier
	global_load_dwordx2 v[18:19], v3, s[38:39]
	s_lshl_b64 s[0:1], s[6:7], 2
	s_add_u32 s12, s4, s0
	s_mul_i32 s0, s11, 0x1e00
	s_addc_u32 s13, s5, s1
	s_add_i32 s1, s0, s6
	v_mov_b32_e32 v5, s9
	s_add_i32 s9, s11, -1
	s_sub_i32 s52, s8, s1
	s_add_u32 s0, s6, s0
	v_readfirstlane_b32 s33, v1
	s_addc_u32 s1, s7, 0
	v_mov_b32_e32 v4, s8
	s_cmp_eq_u32 s33, s9
	v_cmp_ge_u64_e32 vcc, s[0:1], v[4:5]
	s_cselect_b64 s[34:35], -1, 0
	s_mul_i32 s4, s33, 0x1e00
	s_mov_b32 s5, 0
	s_and_b64 s[46:47], vcc, s[34:35]
	s_xor_b64 s[38:39], s[46:47], -1
	s_lshl_b64 s[0:1], s[4:5], 2
	s_add_u32 s0, s12, s0
	s_mov_b64 s[8:9], -1
	s_addc_u32 s1, s13, s1
	s_and_b64 vcc, exec, s[38:39]
	s_cbranch_vccz .LBB37_6
; %bb.5:
	v_lshlrev_b32_e32 v2, 2, v0
	v_lshl_add_u64 v[4:5], s[0:1], 0, v[2:3]
	v_add_co_u32_e32 v6, vcc, 0x1000, v4
	global_load_dword v1, v2, s[0:1]
	global_load_dword v3, v2, s[0:1] offset:2048
	v_addc_co_u32_e32 v7, vcc, 0, v5, vcc
	v_add_co_u32_e32 v8, vcc, 0x2000, v4
	s_mov_b64 s[8:9], 0
	s_nop 0
	v_addc_co_u32_e32 v9, vcc, 0, v5, vcc
	v_add_co_u32_e32 v10, vcc, 0x3000, v4
	s_nop 1
	v_addc_co_u32_e32 v11, vcc, 0, v5, vcc
	v_add_co_u32_e32 v12, vcc, 0x4000, v4
	s_nop 1
	v_addc_co_u32_e32 v13, vcc, 0, v5, vcc
	global_load_dword v14, v[6:7], off
	global_load_dword v15, v[6:7], off offset:2048
	global_load_dword v16, v[8:9], off
	global_load_dword v17, v[8:9], off offset:2048
	;; [unrolled: 2-line block ×4, first 2 shown]
	v_add_co_u32_e32 v6, vcc, 0x5000, v4
	s_nop 1
	v_addc_co_u32_e32 v7, vcc, 0, v5, vcc
	v_add_co_u32_e32 v8, vcc, 0x6000, v4
	s_nop 1
	v_addc_co_u32_e32 v9, vcc, 0, v5, vcc
	global_load_dword v10, v[6:7], off
	global_load_dword v11, v[6:7], off offset:2048
	global_load_dword v12, v[8:9], off
	global_load_dword v13, v[8:9], off offset:2048
	v_add_co_u32_e32 v4, vcc, 0x7000, v4
	s_nop 1
	v_addc_co_u32_e32 v5, vcc, 0, v5, vcc
	global_load_dword v4, v[4:5], off
	s_waitcnt vmcnt(13)
	ds_write2st64_b32 v2, v1, v3 offset1:8
	s_waitcnt vmcnt(11)
	ds_write2st64_b32 v2, v14, v15 offset0:16 offset1:24
	s_waitcnt vmcnt(9)
	ds_write2st64_b32 v2, v16, v17 offset0:32 offset1:40
	;; [unrolled: 2-line block ×6, first 2 shown]
	s_waitcnt vmcnt(0)
	ds_write_b32 v2, v4 offset:28672
	s_waitcnt lgkmcnt(0)
	s_barrier
.LBB37_6:
	s_andn2_b64 vcc, exec, s[8:9]
	s_addk_i32 s52, 0x1e00
	s_cbranch_vccnz .LBB37_38
; %bb.7:
	v_cmp_gt_u32_e32 vcc, s52, v0
                                        ; implicit-def: $vgpr2_vgpr3_vgpr4_vgpr5_vgpr6_vgpr7_vgpr8_vgpr9_vgpr10_vgpr11_vgpr12_vgpr13_vgpr14_vgpr15_vgpr16_vgpr17
	s_and_saveexec_b64 s[8:9], vcc
	s_cbranch_execz .LBB37_9
; %bb.8:
	v_lshlrev_b32_e32 v1, 2, v0
	global_load_dword v2, v1, s[0:1]
.LBB37_9:
	s_or_b64 exec, exec, s[8:9]
	v_or_b32_e32 v1, 0x200, v0
	v_cmp_gt_u32_e32 vcc, s52, v1
	s_and_saveexec_b64 s[8:9], vcc
	s_cbranch_execz .LBB37_11
; %bb.10:
	v_lshlrev_b32_e32 v1, 2, v0
	global_load_dword v3, v1, s[0:1] offset:2048
.LBB37_11:
	s_or_b64 exec, exec, s[8:9]
	v_or_b32_e32 v1, 0x400, v0
	v_cmp_gt_u32_e32 vcc, s52, v1
	s_and_saveexec_b64 s[8:9], vcc
	s_cbranch_execz .LBB37_13
; %bb.12:
	v_lshlrev_b32_e32 v1, 2, v1
	global_load_dword v4, v1, s[0:1]
.LBB37_13:
	s_or_b64 exec, exec, s[8:9]
	v_or_b32_e32 v1, 0x600, v0
	v_cmp_gt_u32_e32 vcc, s52, v1
	s_and_saveexec_b64 s[8:9], vcc
	s_cbranch_execz .LBB37_15
; %bb.14:
	v_lshlrev_b32_e32 v1, 2, v1
	global_load_dword v5, v1, s[0:1]
.LBB37_15:
	;; [unrolled: 9-line block ×13, first 2 shown]
	s_or_b64 exec, exec, s[8:9]
	v_lshlrev_b32_e32 v1, 2, v0
	s_waitcnt vmcnt(0)
	ds_write2st64_b32 v1, v2, v3 offset1:8
	ds_write2st64_b32 v1, v4, v5 offset0:16 offset1:24
	ds_write2st64_b32 v1, v6, v7 offset0:32 offset1:40
	;; [unrolled: 1-line block ×6, first 2 shown]
	ds_write_b32 v1, v16 offset:28672
	s_waitcnt lgkmcnt(0)
	s_barrier
.LBB37_38:
	v_mul_u32_u24_e32 v2, 15, v0
	v_lshlrev_b32_e32 v17, 2, v2
	ds_read2_b32 v[46:47], v17 offset1:1
	ds_read2_b32 v[44:45], v17 offset0:2 offset1:3
	ds_read2_b32 v[42:43], v17 offset0:4 offset1:5
	;; [unrolled: 1-line block ×6, first 2 shown]
	ds_read_b32 v1, v17 offset:56
	s_add_i32 s5, s10, s6
	s_add_i32 s5, s5, s4
	v_add_u32_e32 v3, s5, v0
	s_mov_b64 s[4:5], -1
	s_and_b64 vcc, exec, s[38:39]
	s_waitcnt lgkmcnt(0)
	s_barrier
	s_cbranch_vccz .LBB37_40
; %bb.39:
	v_add_u32_e32 v4, 0x200, v3
	v_lshlrev_b32_e32 v21, 2, v0
	v_add_u32_e32 v5, 0x400, v3
	v_add_u32_e32 v6, 0x600, v3
	v_add_u32_e32 v7, 0x800, v3
	v_add_u32_e32 v8, 0xa00, v3
	v_add_u32_e32 v9, 0xc00, v3
	v_add_u32_e32 v10, 0xe00, v3
	v_add_u32_e32 v11, 0x1000, v3
	v_add_u32_e32 v12, 0x1200, v3
	v_add_u32_e32 v13, 0x1400, v3
	v_add_u32_e32 v14, 0x1600, v3
	v_add_u32_e32 v15, 0x1800, v3
	v_add_u32_e32 v16, 0x1a00, v3
	v_add_u32_e32 v20, 0x1c00, v3
	ds_write2st64_b32 v21, v3, v4 offset1:8
	ds_write2st64_b32 v21, v5, v6 offset0:16 offset1:24
	ds_write2st64_b32 v21, v7, v8 offset0:32 offset1:40
	;; [unrolled: 1-line block ×6, first 2 shown]
	ds_write_b32 v21, v20 offset:28672
	s_waitcnt lgkmcnt(0)
	s_barrier
	s_mov_b64 s[4:5], 0
.LBB37_40:
	s_andn2_b64 vcc, exec, s[4:5]
	s_cbranch_vccnz .LBB37_42
; %bb.41:
	s_movk_i32 s4, 0xffc8
	v_add_u32_e32 v4, 0x200, v3
	v_mad_i32_i24 v21, v0, s4, v17
	v_add_u32_e32 v5, 0x400, v3
	v_add_u32_e32 v6, 0x600, v3
	;; [unrolled: 1-line block ×13, first 2 shown]
	ds_write2st64_b32 v21, v3, v4 offset1:8
	ds_write2st64_b32 v21, v5, v6 offset0:16 offset1:24
	ds_write2st64_b32 v21, v7, v8 offset0:32 offset1:40
	;; [unrolled: 1-line block ×6, first 2 shown]
	ds_write_b32 v21, v20 offset:28672
	s_waitcnt lgkmcnt(0)
	s_barrier
.LBB37_42:
	ds_read2_b32 v[32:33], v17 offset1:1
	ds_read2_b32 v[30:31], v17 offset0:2 offset1:3
	ds_read2_b32 v[28:29], v17 offset0:4 offset1:5
	;; [unrolled: 1-line block ×6, first 2 shown]
	ds_read_b32 v52, v17 offset:56
	s_cmp_lg_u32 s33, 0
	s_cselect_b64 s[48:49], -1, 0
	s_cmp_lg_u64 s[6:7], 0
	s_cselect_b64 s[4:5], -1, 0
	s_or_b64 s[4:5], s[4:5], s[48:49]
	v_add_u32_e32 v16, 1, v2
	v_add_u32_e32 v15, 2, v2
	;; [unrolled: 1-line block ×14, first 2 shown]
	s_mov_b64 s[50:51], 0
	s_and_b64 vcc, exec, s[4:5]
	s_waitcnt lgkmcnt(0)
	s_barrier
	s_cbranch_vccz .LBB37_47
; %bb.43:
	v_mov_b32_e32 v17, 0
	global_load_dword v17, v17, s[0:1] offset:-4
	v_lshlrev_b32_e32 v48, 2, v0
	s_and_b64 vcc, exec, s[38:39]
	ds_write_b32 v48, v1
	s_cbranch_vccz .LBB37_49
; %bb.44:
	s_waitcnt vmcnt(0)
	v_mov_b32_e32 v49, v17
	s_waitcnt lgkmcnt(0)
	s_barrier
	s_and_saveexec_b64 s[0:1], s[2:3]
	s_cbranch_execz .LBB37_46
; %bb.45:
	v_add_u32_e32 v49, -4, v48
	ds_read_b32 v49, v49
.LBB37_46:
	s_or_b64 exec, exec, s[0:1]
	v_cmp_ne_u32_e32 vcc, v35, v1
	s_waitcnt lgkmcnt(0)
	v_cmp_ne_u32_e64 s[0:1], v49, v46
	v_cndmask_b32_e64 v53, 0, 1, vcc
	v_cmp_ne_u32_e32 vcc, v34, v35
	s_nop 1
	v_cndmask_b32_e64 v54, 0, 1, vcc
	v_cmp_ne_u32_e32 vcc, v37, v34
	s_nop 1
	;; [unrolled: 3-line block ×13, first 2 shown]
	v_cndmask_b32_e64 v66, 0, 1, vcc
	s_branch .LBB37_53
.LBB37_47:
                                        ; implicit-def: $sgpr0_sgpr1
                                        ; implicit-def: $vgpr53
                                        ; implicit-def: $vgpr54
                                        ; implicit-def: $vgpr55
                                        ; implicit-def: $vgpr56
                                        ; implicit-def: $vgpr57
                                        ; implicit-def: $vgpr58
                                        ; implicit-def: $vgpr59
                                        ; implicit-def: $vgpr66
                                        ; implicit-def: $vgpr65
                                        ; implicit-def: $vgpr64
                                        ; implicit-def: $vgpr63
                                        ; implicit-def: $vgpr62
                                        ; implicit-def: $vgpr61
                                        ; implicit-def: $vgpr60
	s_branch .LBB37_54
.LBB37_48:
                                        ; implicit-def: $sgpr6
	s_branch .LBB37_62
.LBB37_49:
                                        ; implicit-def: $sgpr0_sgpr1
                                        ; implicit-def: $vgpr53
                                        ; implicit-def: $vgpr54
                                        ; implicit-def: $vgpr55
                                        ; implicit-def: $vgpr56
                                        ; implicit-def: $vgpr57
                                        ; implicit-def: $vgpr58
                                        ; implicit-def: $vgpr59
                                        ; implicit-def: $vgpr66
                                        ; implicit-def: $vgpr65
                                        ; implicit-def: $vgpr64
                                        ; implicit-def: $vgpr63
                                        ; implicit-def: $vgpr62
                                        ; implicit-def: $vgpr61
                                        ; implicit-def: $vgpr60
	s_cbranch_execz .LBB37_53
; %bb.50:
	s_waitcnt lgkmcnt(0)
	s_barrier
	s_and_saveexec_b64 s[0:1], s[2:3]
	s_cbranch_execz .LBB37_52
; %bb.51:
	s_waitcnt vmcnt(0)
	v_add_u32_e32 v17, -4, v48
	ds_read_b32 v17, v17
.LBB37_52:
	s_or_b64 exec, exec, s[0:1]
	v_cmp_gt_u32_e32 vcc, s52, v3
	v_cmp_ne_u32_e64 s[0:1], v35, v1
	s_and_b64 s[0:1], vcc, s[0:1]
	v_cmp_gt_u32_e32 vcc, s52, v4
	v_cndmask_b32_e64 v53, 0, 1, s[0:1]
	v_cmp_ne_u32_e64 s[0:1], v34, v35
	s_and_b64 s[0:1], vcc, s[0:1]
	v_cmp_gt_u32_e32 vcc, s52, v5
	v_cndmask_b32_e64 v54, 0, 1, s[0:1]
	;; [unrolled: 4-line block ×14, first 2 shown]
	s_waitcnt vmcnt(0) lgkmcnt(0)
	v_cmp_ne_u32_e64 s[0:1], v17, v46
	s_and_b64 s[0:1], vcc, s[0:1]
.LBB37_53:
	s_mov_b64 s[50:51], -1
	s_cbranch_execnz .LBB37_48
.LBB37_54:
	s_waitcnt vmcnt(0)
	v_lshlrev_b32_e32 v17, 2, v0
	s_and_b64 vcc, exec, s[38:39]
	v_cmp_ne_u32_e64 s[0:1], v35, v1
	v_cmp_ne_u32_e64 s[4:5], v34, v35
	;; [unrolled: 1-line block ×14, first 2 shown]
	ds_write_b32 v17, v1
	s_cbranch_vccz .LBB37_58
; %bb.55:
	v_cndmask_b32_e64 v53, 0, 1, s[0:1]
	v_cndmask_b32_e64 v54, 0, 1, s[4:5]
	;; [unrolled: 1-line block ×14, first 2 shown]
	s_waitcnt lgkmcnt(0)
	s_barrier
	s_waitcnt lgkmcnt(0)
                                        ; implicit-def: $sgpr0_sgpr1
	s_and_saveexec_b64 s[4:5], s[2:3]
	s_xor_b64 s[4:5], exec, s[4:5]
	s_cbranch_execz .LBB37_57
; %bb.56:
	v_add_u32_e32 v48, -4, v17
	ds_read_b32 v48, v48
	s_or_b64 s[50:51], s[50:51], exec
	s_waitcnt lgkmcnt(0)
	v_cmp_ne_u32_e32 vcc, v48, v46
	s_and_b64 s[0:1], vcc, exec
.LBB37_57:
	s_or_b64 exec, exec, s[4:5]
	s_mov_b32 s6, 1
	s_branch .LBB37_62
.LBB37_58:
                                        ; implicit-def: $sgpr0_sgpr1
                                        ; implicit-def: $vgpr53
                                        ; implicit-def: $vgpr54
                                        ; implicit-def: $vgpr55
                                        ; implicit-def: $vgpr56
                                        ; implicit-def: $vgpr57
                                        ; implicit-def: $vgpr58
                                        ; implicit-def: $vgpr59
                                        ; implicit-def: $vgpr66
                                        ; implicit-def: $vgpr65
                                        ; implicit-def: $vgpr64
                                        ; implicit-def: $vgpr63
                                        ; implicit-def: $vgpr62
                                        ; implicit-def: $vgpr61
                                        ; implicit-def: $vgpr60
                                        ; implicit-def: $sgpr6
	s_cbranch_execz .LBB37_62
; %bb.59:
	v_cmp_gt_u32_e32 vcc, s52, v3
	v_cmp_ne_u32_e64 s[0:1], v35, v1
	s_and_b64 s[0:1], vcc, s[0:1]
	v_cmp_gt_u32_e32 vcc, s52, v4
	v_cndmask_b32_e64 v53, 0, 1, s[0:1]
	v_cmp_ne_u32_e64 s[0:1], v34, v35
	s_and_b64 s[0:1], vcc, s[0:1]
	v_cmp_gt_u32_e32 vcc, s52, v5
	v_cndmask_b32_e64 v54, 0, 1, s[0:1]
	;; [unrolled: 4-line block ×13, first 2 shown]
	v_cmp_ne_u32_e64 s[0:1], v46, v47
	s_and_b64 s[0:1], vcc, s[0:1]
	s_waitcnt lgkmcnt(0)
	v_cndmask_b32_e64 v66, 0, 1, s[0:1]
	s_barrier
	s_waitcnt lgkmcnt(0)
                                        ; implicit-def: $sgpr0_sgpr1
	s_and_saveexec_b64 s[4:5], s[2:3]
	s_cbranch_execz .LBB37_61
; %bb.60:
	v_add_u32_e32 v17, -4, v17
	ds_read_b32 v17, v17
	v_cmp_gt_u32_e32 vcc, s52, v2
	s_or_b64 s[50:51], s[50:51], exec
	s_waitcnt lgkmcnt(0)
	v_cmp_ne_u32_e64 s[0:1], v17, v46
	s_and_b64 s[0:1], vcc, s[0:1]
	s_and_b64 s[0:1], s[0:1], exec
.LBB37_61:
	s_or_b64 exec, exec, s[4:5]
	s_mov_b32 s6, 1
.LBB37_62:
	v_mov_b32_e32 v49, s6
	s_and_saveexec_b64 s[2:3], s[50:51]
; %bb.63:
	v_cndmask_b32_e64 v49, 0, 1, s[0:1]
; %bb.64:
	s_or_b64 exec, exec, s[2:3]
	s_andn2_b64 vcc, exec, s[46:47]
	s_cbranch_vccnz .LBB37_66
; %bb.65:
	v_cmp_gt_u32_e32 vcc, s52, v2
	s_nop 1
	v_cndmask_b32_e32 v49, 0, v49, vcc
	v_cmp_gt_u32_e32 vcc, s52, v16
	s_nop 1
	v_cndmask_b32_e32 v66, 0, v66, vcc
	;; [unrolled: 3-line block ×15, first 2 shown]
.LBB37_66:
	v_and_b32_e32 v70, 0xff, v62
	v_and_b32_e32 v71, 0xff, v61
	;; [unrolled: 1-line block ×5, first 2 shown]
	v_add3_u32 v3, v71, v72, v70
	v_and_b32_e32 v51, 0xff, v66
	v_and_b32_e32 v67, 0xff, v65
	v_add3_u32 v3, v3, v69, v68
	v_and_b32_e32 v50, 0xff, v49
	v_and_b32_e32 v73, 0xff, v59
	;; [unrolled: 3-line block ×5, first 2 shown]
	v_add3_u32 v3, v3, v76, v77
	v_add3_u32 v81, v3, v78, v2
	v_mbcnt_lo_u32_b32 v2, -1, 0
	v_mbcnt_hi_u32_b32 v79, -1, v2
	v_and_b32_e32 v2, 15, v79
	v_cmp_eq_u32_e64 s[14:15], 0, v2
	v_cmp_lt_u32_e64 s[12:13], 1, v2
	v_cmp_lt_u32_e64 s[10:11], 3, v2
	;; [unrolled: 1-line block ×3, first 2 shown]
	v_and_b32_e32 v2, 16, v79
	v_cmp_eq_u32_e64 s[6:7], 0, v2
	v_or_b32_e32 v2, 63, v0
	v_cmp_lt_u32_e64 s[2:3], 31, v79
	v_lshrrev_b32_e32 v80, 6, v0
	v_cmp_eq_u32_e64 s[4:5], v2, v0
	s_and_b64 vcc, exec, s[48:49]
	s_waitcnt lgkmcnt(0)
	s_barrier
	s_cbranch_vccz .LBB37_93
; %bb.67:
	v_mov_b32_dpp v2, v81 row_shr:1 row_mask:0xf bank_mask:0xf
	v_cndmask_b32_e64 v2, v2, 0, s[14:15]
	v_add_u32_e32 v2, v2, v81
	s_nop 1
	v_mov_b32_dpp v3, v2 row_shr:2 row_mask:0xf bank_mask:0xf
	v_cndmask_b32_e64 v3, 0, v3, s[12:13]
	v_add_u32_e32 v2, v2, v3
	s_nop 1
	;; [unrolled: 4-line block ×4, first 2 shown]
	v_mov_b32_dpp v3, v2 row_bcast:15 row_mask:0xf bank_mask:0xf
	v_cndmask_b32_e64 v3, v3, 0, s[6:7]
	v_add_u32_e32 v2, v2, v3
	s_nop 1
	v_mov_b32_dpp v3, v2 row_bcast:31 row_mask:0xf bank_mask:0xf
	v_cndmask_b32_e64 v3, 0, v3, s[2:3]
	v_add_u32_e32 v2, v2, v3
	s_and_saveexec_b64 s[0:1], s[4:5]
	s_cbranch_execz .LBB37_69
; %bb.68:
	v_lshlrev_b32_e32 v3, 2, v80
	ds_write_b32 v3, v2
.LBB37_69:
	s_or_b64 exec, exec, s[0:1]
	v_cmp_gt_u32_e32 vcc, 8, v0
	s_waitcnt lgkmcnt(0)
	s_barrier
	s_and_saveexec_b64 s[0:1], vcc
	s_cbranch_execz .LBB37_71
; %bb.70:
	v_lshlrev_b32_e32 v3, 2, v0
	ds_read_b32 v4, v3
	v_and_b32_e32 v5, 7, v79
	v_cmp_ne_u32_e32 vcc, 0, v5
	s_waitcnt lgkmcnt(0)
	v_mov_b32_dpp v6, v4 row_shr:1 row_mask:0xf bank_mask:0xf
	v_cndmask_b32_e32 v6, 0, v6, vcc
	v_add_u32_e32 v4, v6, v4
	v_cmp_lt_u32_e32 vcc, 1, v5
	s_nop 0
	v_mov_b32_dpp v6, v4 row_shr:2 row_mask:0xf bank_mask:0xf
	v_cndmask_b32_e32 v6, 0, v6, vcc
	v_add_u32_e32 v4, v4, v6
	v_cmp_lt_u32_e32 vcc, 3, v5
	s_nop 0
	v_mov_b32_dpp v6, v4 row_shr:4 row_mask:0xf bank_mask:0xf
	v_cndmask_b32_e32 v5, 0, v6, vcc
	v_add_u32_e32 v4, v4, v5
	ds_write_b32 v3, v4
.LBB37_71:
	s_or_b64 exec, exec, s[0:1]
	v_cmp_gt_u32_e32 vcc, 64, v0
	v_cmp_lt_u32_e64 s[0:1], 63, v0
	s_waitcnt lgkmcnt(0)
	s_barrier
	s_waitcnt lgkmcnt(0)
                                        ; implicit-def: $vgpr12
	s_and_saveexec_b64 s[16:17], s[0:1]
	s_cbranch_execz .LBB37_73
; %bb.72:
	v_lshl_add_u32 v3, v80, 2, -4
	ds_read_b32 v12, v3
	s_waitcnt lgkmcnt(0)
	v_add_u32_e32 v2, v12, v2
.LBB37_73:
	s_or_b64 exec, exec, s[16:17]
	v_add_u32_e32 v3, -1, v79
	v_and_b32_e32 v4, 64, v79
	v_cmp_lt_i32_e64 s[0:1], v3, v4
	v_cmp_eq_u32_e64 s[16:17], 0, v79
	s_nop 0
	v_cndmask_b32_e64 v3, v3, v79, s[0:1]
	v_lshlrev_b32_e32 v3, 2, v3
	ds_bpermute_b32 v13, v3, v2
	s_and_saveexec_b64 s[0:1], vcc
	s_cbranch_execz .LBB37_92
; %bb.74:
	v_mov_b32_e32 v9, 0
	ds_read_b32 v2, v9 offset:28
	s_and_saveexec_b64 s[20:21], s[16:17]
	s_cbranch_execz .LBB37_76
; %bb.75:
	s_add_i32 s22, s33, 64
	s_mov_b32 s23, 0
	s_lshl_b64 s[22:23], s[22:23], 3
	s_add_u32 s22, s44, s22
	v_mov_b32_e32 v3, 1
	s_addc_u32 s23, s45, s23
	s_waitcnt lgkmcnt(0)
	global_store_dwordx2 v9, v[2:3], s[22:23] sc1
.LBB37_76:
	s_or_b64 exec, exec, s[20:21]
	v_xad_u32 v4, v79, -1, s33
	v_add_u32_e32 v8, 64, v4
	v_lshl_add_u64 v[10:11], v[8:9], 3, s[44:45]
	global_load_dwordx2 v[6:7], v[10:11], off sc1
	s_waitcnt vmcnt(0)
	v_cmp_eq_u16_sdwa s[22:23], v7, v9 src0_sel:BYTE_0 src1_sel:DWORD
	s_and_saveexec_b64 s[20:21], s[22:23]
	s_cbranch_execz .LBB37_80
; %bb.77:
	s_mov_b64 s[22:23], 0
	v_mov_b32_e32 v3, 0
.LBB37_78:                              ; =>This Inner Loop Header: Depth=1
	global_load_dwordx2 v[6:7], v[10:11], off sc1
	s_waitcnt vmcnt(0)
	v_cmp_ne_u16_sdwa s[24:25], v7, v3 src0_sel:BYTE_0 src1_sel:DWORD
	s_or_b64 s[22:23], s[24:25], s[22:23]
	s_andn2_b64 exec, exec, s[22:23]
	s_cbranch_execnz .LBB37_78
; %bb.79:
	s_or_b64 exec, exec, s[22:23]
.LBB37_80:
	s_or_b64 exec, exec, s[20:21]
	v_and_b32_e32 v15, 63, v79
	v_mov_b32_e32 v14, 2
	v_cmp_ne_u32_e32 vcc, 63, v15
	v_cmp_eq_u16_sdwa s[20:21], v7, v14 src0_sel:BYTE_0 src1_sel:DWORD
	v_lshlrev_b64 v[8:9], v79, -1
	v_addc_co_u32_e32 v10, vcc, 0, v79, vcc
	v_and_b32_e32 v3, s21, v9
	v_lshlrev_b32_e32 v16, 2, v10
	v_or_b32_e32 v3, 0x80000000, v3
	ds_bpermute_b32 v10, v16, v6
	v_and_b32_e32 v5, s20, v8
	v_ffbl_b32_e32 v3, v3
	v_add_u32_e32 v3, 32, v3
	v_ffbl_b32_e32 v5, v5
	v_min_u32_e32 v3, v5, v3
	v_cmp_lt_u32_e32 vcc, v15, v3
	v_add_u32_e32 v48, 2, v15
	v_add_u32_e32 v83, 4, v15
	s_waitcnt lgkmcnt(0)
	v_cndmask_b32_e32 v5, 0, v10, vcc
	v_cmp_gt_u32_e32 vcc, 62, v15
	v_add_u32_e32 v5, v5, v6
	v_add_u32_e32 v85, 8, v15
	v_cndmask_b32_e64 v6, 0, 1, vcc
	v_lshlrev_b32_e32 v6, 1, v6
	v_add_lshl_u32 v17, v6, v79, 2
	ds_bpermute_b32 v6, v17, v5
	v_cmp_le_u32_e32 vcc, v48, v3
	v_add_u32_e32 v87, 16, v15
	v_add_u32_e32 v89, 32, v15
	s_waitcnt lgkmcnt(0)
	v_cndmask_b32_e32 v6, 0, v6, vcc
	v_cmp_gt_u32_e32 vcc, 60, v15
	v_add_u32_e32 v5, v5, v6
	s_nop 0
	v_cndmask_b32_e64 v6, 0, 1, vcc
	v_lshlrev_b32_e32 v6, 2, v6
	v_add_lshl_u32 v82, v6, v79, 2
	ds_bpermute_b32 v6, v82, v5
	v_cmp_le_u32_e32 vcc, v83, v3
	s_waitcnt lgkmcnt(0)
	s_nop 0
	v_cndmask_b32_e32 v6, 0, v6, vcc
	v_cmp_gt_u32_e32 vcc, 56, v15
	v_add_u32_e32 v5, v5, v6
	s_nop 0
	v_cndmask_b32_e64 v6, 0, 1, vcc
	v_lshlrev_b32_e32 v6, 3, v6
	v_add_lshl_u32 v84, v6, v79, 2
	ds_bpermute_b32 v6, v84, v5
	v_cmp_le_u32_e32 vcc, v85, v3
	s_waitcnt lgkmcnt(0)
	s_nop 0
	;; [unrolled: 11-line block ×4, first 2 shown]
	v_cndmask_b32_e32 v3, 0, v6, vcc
	v_add_u32_e32 v6, v5, v3
	v_mov_b32_e32 v5, 0
	s_branch .LBB37_82
.LBB37_81:                              ;   in Loop: Header=BB37_82 Depth=1
	s_or_b64 exec, exec, s[20:21]
	v_cmp_eq_u16_sdwa s[20:21], v7, v14 src0_sel:BYTE_0 src1_sel:DWORD
	ds_bpermute_b32 v90, v16, v6
	v_subrev_u32_e32 v4, 64, v4
	v_and_b32_e32 v10, s21, v9
	v_or_b32_e32 v10, 0x80000000, v10
	v_and_b32_e32 v11, s20, v8
	v_ffbl_b32_e32 v10, v10
	v_add_u32_e32 v10, 32, v10
	v_ffbl_b32_e32 v11, v11
	v_min_u32_e32 v10, v11, v10
	v_cmp_lt_u32_e32 vcc, v15, v10
	s_waitcnt lgkmcnt(0)
	s_nop 0
	v_cndmask_b32_e32 v11, 0, v90, vcc
	v_add_u32_e32 v6, v11, v6
	ds_bpermute_b32 v11, v17, v6
	v_cmp_le_u32_e32 vcc, v48, v10
	s_waitcnt lgkmcnt(0)
	s_nop 0
	v_cndmask_b32_e32 v11, 0, v11, vcc
	v_add_u32_e32 v6, v6, v11
	ds_bpermute_b32 v11, v82, v6
	v_cmp_le_u32_e32 vcc, v83, v10
	;; [unrolled: 6-line block ×5, first 2 shown]
	s_waitcnt lgkmcnt(0)
	s_nop 0
	v_cndmask_b32_e32 v10, 0, v11, vcc
	v_add3_u32 v6, v10, v3, v6
.LBB37_82:                              ; =>This Loop Header: Depth=1
                                        ;     Child Loop BB37_85 Depth 2
	v_cmp_ne_u16_sdwa s[20:21], v7, v14 src0_sel:BYTE_0 src1_sel:DWORD
	s_nop 1
	v_cndmask_b32_e64 v3, 0, 1, s[20:21]
	;;#ASMSTART
	;;#ASMEND
	s_nop 0
	v_cmp_ne_u32_e32 vcc, 0, v3
	s_cmp_lg_u64 vcc, exec
	v_mov_b32_e32 v3, v6
	s_cbranch_scc1 .LBB37_87
; %bb.83:                               ;   in Loop: Header=BB37_82 Depth=1
	v_lshl_add_u64 v[10:11], v[4:5], 3, s[44:45]
	global_load_dwordx2 v[6:7], v[10:11], off sc1
	s_waitcnt vmcnt(0)
	v_cmp_eq_u16_sdwa s[22:23], v7, v5 src0_sel:BYTE_0 src1_sel:DWORD
	s_and_saveexec_b64 s[20:21], s[22:23]
	s_cbranch_execz .LBB37_81
; %bb.84:                               ;   in Loop: Header=BB37_82 Depth=1
	s_mov_b64 s[22:23], 0
.LBB37_85:                              ;   Parent Loop BB37_82 Depth=1
                                        ; =>  This Inner Loop Header: Depth=2
	global_load_dwordx2 v[6:7], v[10:11], off sc1
	s_waitcnt vmcnt(0)
	v_cmp_ne_u16_sdwa s[24:25], v7, v5 src0_sel:BYTE_0 src1_sel:DWORD
	s_or_b64 s[22:23], s[24:25], s[22:23]
	s_andn2_b64 exec, exec, s[22:23]
	s_cbranch_execnz .LBB37_85
; %bb.86:                               ;   in Loop: Header=BB37_82 Depth=1
	s_or_b64 exec, exec, s[22:23]
	s_branch .LBB37_81
.LBB37_87:                              ;   in Loop: Header=BB37_82 Depth=1
                                        ; implicit-def: $vgpr6
                                        ; implicit-def: $vgpr7
	s_cbranch_execz .LBB37_82
; %bb.88:
	s_and_saveexec_b64 s[20:21], s[16:17]
	s_cbranch_execz .LBB37_90
; %bb.89:
	s_add_i32 s22, s33, 64
	s_mov_b32 s23, 0
	s_lshl_b64 s[22:23], s[22:23], 3
	s_add_u32 s22, s44, s22
	v_add_u32_e32 v4, v3, v2
	v_mov_b32_e32 v5, 2
	s_addc_u32 s23, s45, s23
	v_mov_b32_e32 v6, 0
	global_store_dwordx2 v6, v[4:5], s[22:23] sc1
	ds_write_b64 v6, v[2:3] offset:30720
.LBB37_90:
	s_or_b64 exec, exec, s[20:21]
	s_and_b64 exec, exec, s[18:19]
	s_cbranch_execz .LBB37_92
; %bb.91:
	v_mov_b32_e32 v2, 0
	ds_write_b32 v2, v3 offset:28
.LBB37_92:
	s_or_b64 exec, exec, s[0:1]
	v_mov_b32_e32 v14, 0
	s_waitcnt lgkmcnt(0)
	s_barrier
	ds_read_b32 v2, v14 offset:28
	v_cndmask_b32_e64 v3, v13, v12, s[16:17]
	v_cndmask_b32_e64 v3, v3, 0, s[18:19]
	s_waitcnt lgkmcnt(0)
	s_barrier
	v_add_u32_e32 v2, v2, v3
	v_add_u32_e32 v3, v2, v50
	;; [unrolled: 1-line block ×10, first 2 shown]
	ds_read_b64 v[82:83], v14 offset:30720
	v_add_u32_e32 v12, v11, v74
	v_add_u32_e32 v13, v12, v75
	;; [unrolled: 1-line block ×5, first 2 shown]
	s_waitcnt lgkmcnt(0)
	v_readfirstlane_b32 s16, v82
	v_mov_b32_e32 v48, v83
	s_branch .LBB37_103
.LBB37_93:
                                        ; implicit-def: $vgpr48
                                        ; implicit-def: $sgpr16
                                        ; implicit-def: $vgpr2_vgpr3_vgpr4_vgpr5_vgpr6_vgpr7_vgpr8_vgpr9_vgpr10_vgpr11_vgpr12_vgpr13_vgpr14_vgpr15_vgpr16_vgpr17
	s_cbranch_execz .LBB37_103
; %bb.94:
	s_nop 0
	v_mov_b32_dpp v2, v81 row_shr:1 row_mask:0xf bank_mask:0xf
	v_cndmask_b32_e64 v2, v2, 0, s[14:15]
	v_add_u32_e32 v2, v2, v81
	s_nop 1
	v_mov_b32_dpp v3, v2 row_shr:2 row_mask:0xf bank_mask:0xf
	v_cndmask_b32_e64 v3, 0, v3, s[12:13]
	v_add_u32_e32 v2, v2, v3
	;; [unrolled: 4-line block ×4, first 2 shown]
	s_nop 1
	v_mov_b32_dpp v3, v2 row_bcast:15 row_mask:0xf bank_mask:0xf
	v_cndmask_b32_e64 v3, v3, 0, s[6:7]
	v_add_u32_e32 v2, v2, v3
	s_nop 1
	v_mov_b32_dpp v3, v2 row_bcast:31 row_mask:0xf bank_mask:0xf
	v_cndmask_b32_e64 v3, 0, v3, s[2:3]
	v_add_u32_e32 v2, v2, v3
	s_and_saveexec_b64 s[0:1], s[4:5]
	s_cbranch_execz .LBB37_96
; %bb.95:
	v_lshlrev_b32_e32 v3, 2, v80
	ds_write_b32 v3, v2
.LBB37_96:
	s_or_b64 exec, exec, s[0:1]
	v_cmp_gt_u32_e32 vcc, 8, v0
	s_waitcnt lgkmcnt(0)
	s_barrier
	s_and_saveexec_b64 s[0:1], vcc
	s_cbranch_execz .LBB37_98
; %bb.97:
	v_lshlrev_b32_e32 v3, 2, v0
	ds_read_b32 v4, v3
	v_and_b32_e32 v5, 7, v79
	v_cmp_ne_u32_e32 vcc, 0, v5
	s_waitcnt lgkmcnt(0)
	v_mov_b32_dpp v6, v4 row_shr:1 row_mask:0xf bank_mask:0xf
	v_cndmask_b32_e32 v6, 0, v6, vcc
	v_add_u32_e32 v4, v6, v4
	v_cmp_lt_u32_e32 vcc, 1, v5
	s_nop 0
	v_mov_b32_dpp v6, v4 row_shr:2 row_mask:0xf bank_mask:0xf
	v_cndmask_b32_e32 v6, 0, v6, vcc
	v_add_u32_e32 v4, v4, v6
	v_cmp_lt_u32_e32 vcc, 3, v5
	s_nop 0
	v_mov_b32_dpp v6, v4 row_shr:4 row_mask:0xf bank_mask:0xf
	v_cndmask_b32_e32 v5, 0, v6, vcc
	v_add_u32_e32 v4, v4, v5
	ds_write_b32 v3, v4
.LBB37_98:
	s_or_b64 exec, exec, s[0:1]
	v_cmp_lt_u32_e32 vcc, 63, v0
	v_mov_b32_e32 v4, 0
	v_mov_b32_e32 v3, 0
	s_waitcnt lgkmcnt(0)
	s_barrier
	s_and_saveexec_b64 s[0:1], vcc
	s_cbranch_execz .LBB37_100
; %bb.99:
	v_lshl_add_u32 v3, v80, 2, -4
	ds_read_b32 v3, v3
.LBB37_100:
	s_or_b64 exec, exec, s[0:1]
	v_add_u32_e32 v5, -1, v79
	v_and_b32_e32 v6, 64, v79
	v_cmp_lt_i32_e32 vcc, v5, v6
	s_waitcnt lgkmcnt(0)
	v_add_u32_e32 v2, v3, v2
	ds_read_b32 v4, v4 offset:28
	v_cndmask_b32_e32 v5, v5, v79, vcc
	v_lshlrev_b32_e32 v5, 2, v5
	ds_bpermute_b32 v2, v5, v2
	s_waitcnt lgkmcnt(1)
	v_readfirstlane_b32 s16, v4
	s_and_saveexec_b64 s[0:1], s[18:19]
	s_cbranch_execz .LBB37_102
; %bb.101:
	v_mov_b32_e32 v6, 0
	v_mov_b32_e32 v4, s16
	;; [unrolled: 1-line block ×3, first 2 shown]
	global_store_dwordx2 v6, v[4:5], s[44:45] offset:512 sc1
.LBB37_102:
	s_or_b64 exec, exec, s[0:1]
	v_cmp_eq_u32_e32 vcc, 0, v79
	v_mov_b32_e32 v48, 0
	s_waitcnt lgkmcnt(0)
	v_cndmask_b32_e32 v2, v2, v3, vcc
	v_cndmask_b32_e64 v2, v2, 0, s[18:19]
	v_add_u32_e32 v3, v2, v50
	v_add_u32_e32 v4, v3, v51
	;; [unrolled: 1-line block ×14, first 2 shown]
	s_barrier
.LBB37_103:
	s_cmpk_lt_u32 s16, 0x201
	s_cselect_b64 s[2:3], -1, 0
	v_add_u32_e32 v67, s16, v48
	s_mov_b64 s[4:5], -1
	s_and_b64 vcc, exec, s[2:3]
	v_cmp_lt_u32_e64 s[0:1], v2, v67
	s_cbranch_vccz .LBB37_150
; %bb.104:
	s_waitcnt vmcnt(0)
	v_lshlrev_b64 v[50:51], 2, v[18:19]
	v_lshl_add_u64 v[50:51], s[40:41], 0, v[50:51]
	s_or_b64 s[4:5], s[38:39], s[0:1]
	s_and_saveexec_b64 s[0:1], s[4:5]
	s_cbranch_execz .LBB37_107
; %bb.105:
	v_and_b32_e32 v17, 1, v49
	v_cmp_eq_u32_e32 vcc, 1, v17
	s_and_b64 exec, exec, vcc
	s_cbranch_execz .LBB37_107
; %bb.106:
	v_mov_b32_e32 v69, 0
	v_mov_b32_e32 v68, v2
	v_lshl_add_u64 v[68:69], v[68:69], 2, v[50:51]
	global_store_dword v[68:69], v46, off
.LBB37_107:
	s_or_b64 exec, exec, s[0:1]
	v_cmp_lt_u32_e32 vcc, v3, v67
	s_or_b64 s[4:5], s[38:39], vcc
	s_and_saveexec_b64 s[0:1], s[4:5]
	s_cbranch_execz .LBB37_110
; %bb.108:
	v_and_b32_e32 v17, 1, v66
	v_cmp_eq_u32_e32 vcc, 1, v17
	s_and_b64 exec, exec, vcc
	s_cbranch_execz .LBB37_110
; %bb.109:
	v_mov_b32_e32 v69, 0
	v_mov_b32_e32 v68, v3
	v_lshl_add_u64 v[68:69], v[68:69], 2, v[50:51]
	global_store_dword v[68:69], v47, off
.LBB37_110:
	s_or_b64 exec, exec, s[0:1]
	v_cmp_lt_u32_e32 vcc, v4, v67
	s_or_b64 s[4:5], s[38:39], vcc
	;; [unrolled: 16-line block ×14, first 2 shown]
	s_and_saveexec_b64 s[0:1], s[4:5]
	s_cbranch_execz .LBB37_149
; %bb.147:
	v_and_b32_e32 v17, 1, v53
	v_cmp_eq_u32_e32 vcc, 1, v17
	s_and_b64 exec, exec, vcc
	s_cbranch_execz .LBB37_149
; %bb.148:
	v_mov_b32_e32 v17, 0
	v_lshl_add_u64 v[50:51], v[16:17], 2, v[50:51]
	global_store_dword v[50:51], v1, off
.LBB37_149:
	s_or_b64 exec, exec, s[0:1]
	s_mov_b64 s[4:5], 0
.LBB37_150:
	v_and_b32_e32 v50, 1, v49
	s_and_b64 vcc, exec, s[4:5]
	v_cmp_eq_u32_e64 s[0:1], 1, v50
	s_cbranch_vccz .LBB37_195
; %bb.151:
	s_and_saveexec_b64 s[4:5], s[0:1]
	s_cbranch_execz .LBB37_153
; %bb.152:
	s_waitcnt vmcnt(0)
	v_sub_u32_e32 v17, v2, v48
	v_lshlrev_b32_e32 v17, 2, v17
	ds_write_b32 v17, v46
.LBB37_153:
	s_or_b64 exec, exec, s[4:5]
	s_waitcnt vmcnt(0)
	v_and_b32_e32 v17, 1, v66
	v_cmp_eq_u32_e32 vcc, 1, v17
	s_and_saveexec_b64 s[0:1], vcc
	s_cbranch_execz .LBB37_155
; %bb.154:
	v_sub_u32_e32 v17, v3, v48
	v_lshlrev_b32_e32 v17, 2, v17
	ds_write_b32 v17, v47
.LBB37_155:
	s_or_b64 exec, exec, s[0:1]
	v_and_b32_e32 v17, 1, v65
	v_cmp_eq_u32_e32 vcc, 1, v17
	s_and_saveexec_b64 s[0:1], vcc
	s_cbranch_execz .LBB37_157
; %bb.156:
	v_sub_u32_e32 v17, v4, v48
	v_lshlrev_b32_e32 v17, 2, v17
	ds_write_b32 v17, v44
.LBB37_157:
	s_or_b64 exec, exec, s[0:1]
	;; [unrolled: 10-line block ×14, first 2 shown]
	v_cmp_gt_u32_e32 vcc, s16, v0
	s_waitcnt lgkmcnt(0)
	s_barrier
	s_and_saveexec_b64 s[0:1], vcc
	s_cbranch_execz .LBB37_194
; %bb.182:
	v_mov_b32_e32 v49, 0
	v_lshlrev_b64 v[34:35], 2, v[18:19]
	v_lshl_add_u64 v[34:35], s[40:41], 0, v[34:35]
	v_lshlrev_b64 v[36:37], 2, v[48:49]
	v_xad_u32 v1, v0, -1, s16
	s_movk_i32 s4, 0x1ff
	v_lshl_add_u64 v[34:35], v[34:35], 0, v[36:37]
	v_cmp_lt_u32_e32 vcc, s4, v1
	s_mov_b64 s[6:7], -1
	v_mov_b32_e32 v36, v0
	s_and_saveexec_b64 s[4:5], vcc
	s_cbranch_execz .LBB37_191
; %bb.183:
	v_lshrrev_b32_e32 v17, 9, v1
	v_add_u32_e32 v36, -1, v17
	v_or_b32_e32 v1, 0x200, v0
	v_lshrrev_b32_e32 v37, 1, v36
	v_add_u32_e32 v40, 1, v37
	v_cmp_lt_u32_e32 vcc, 13, v36
	v_mov_b64_e32 v[36:37], v[0:1]
	s_and_saveexec_b64 s[6:7], vcc
	s_cbranch_execz .LBB37_187
; %bb.184:
	v_and_b32_e32 v41, -8, v40
	v_lshlrev_b32_e32 v42, 2, v0
	s_mov_b32 s10, 0
	s_mov_b64 s[8:9], 0
	v_mov_b32_e32 v39, 0
	v_mov_b64_e32 v[36:37], v[0:1]
.LBB37_185:                             ; =>This Inner Loop Header: Depth=1
	ds_read2st64_b32 v[44:45], v42 offset1:8
	v_mov_b32_e32 v38, v36
	ds_read2st64_b32 v[76:77], v42 offset0:48 offset1:56
	v_lshl_add_u64 v[94:95], v[38:39], 2, v[34:35]
	v_mov_b32_e32 v38, v37
	ds_read2st64_b32 v[68:69], v42 offset0:16 offset1:24
	ds_read2st64_b32 v[80:81], v42 offset0:64 offset1:72
	v_lshl_add_u64 v[96:97], v[38:39], 2, v[34:35]
	v_add_u32_e32 v38, 0x400, v36
	ds_read2st64_b32 v[84:85], v42 offset0:80 offset1:88
	v_lshl_add_u64 v[98:99], v[38:39], 2, v[34:35]
	v_add_u32_e32 v38, 0x800, v36
	v_add_u32_e32 v46, 0x400, v37
	v_mov_b32_e32 v47, v39
	v_add_u32_e32 v70, 0x800, v37
	ds_read2st64_b32 v[72:73], v42 offset0:32 offset1:40
	v_mov_b32_e32 v71, v39
	ds_read2st64_b32 v[88:89], v42 offset0:96 offset1:104
	v_lshl_add_u64 v[100:101], v[38:39], 2, v[34:35]
	v_add_u32_e32 v38, 0xc00, v36
	v_add_u32_e32 v74, 0xc00, v37
	v_mov_b32_e32 v75, v39
	ds_read2st64_b32 v[92:93], v42 offset0:112 offset1:120
	v_lshl_add_u64 v[46:47], v[46:47], 2, v[34:35]
	v_lshl_add_u64 v[70:71], v[70:71], 2, v[34:35]
	s_waitcnt lgkmcnt(7)
	global_store_dword v[94:95], v44, off
	global_store_dword v[96:97], v45, off
	s_waitcnt lgkmcnt(5)
	global_store_dword v[98:99], v68, off
	global_store_dword v[46:47], v69, off
	;; [unrolled: 3-line block ×3, first 2 shown]
	v_lshl_add_u64 v[44:45], v[38:39], 2, v[34:35]
	v_add_u32_e32 v38, 0x1000, v36
	v_add_u32_e32 v78, 0x1000, v37
	v_mov_b32_e32 v79, v39
	v_lshl_add_u64 v[74:75], v[74:75], 2, v[34:35]
	global_store_dword v[44:45], v76, off
	global_store_dword v[74:75], v77, off
	v_lshl_add_u64 v[44:45], v[38:39], 2, v[34:35]
	v_add_u32_e32 v38, 0x1400, v36
	v_add_u32_e32 v82, 0x1400, v37
	v_mov_b32_e32 v83, v39
	v_add_u32_e32 v41, -8, v41
	v_lshl_add_u64 v[78:79], v[78:79], 2, v[34:35]
	global_store_dword v[44:45], v80, off
	global_store_dword v[78:79], v81, off
	v_lshl_add_u64 v[44:45], v[38:39], 2, v[34:35]
	v_add_u32_e32 v38, 0x1800, v36
	v_add_u32_e32 v86, 0x1800, v37
	v_mov_b32_e32 v87, v39
	s_add_i32 s10, s10, 16
	v_lshl_add_u64 v[82:83], v[82:83], 2, v[34:35]
	v_cmp_eq_u32_e32 vcc, 0, v41
	global_store_dword v[44:45], v84, off
	global_store_dword v[82:83], v85, off
	v_lshl_add_u64 v[44:45], v[38:39], 2, v[34:35]
	v_add_u32_e32 v38, 0x1c00, v36
	v_add_u32_e32 v90, 0x1c00, v37
	v_mov_b32_e32 v91, v39
	v_add_u32_e32 v42, 0x8000, v42
	v_lshl_add_u64 v[86:87], v[86:87], 2, v[34:35]
	v_add_u32_e32 v37, 0x2000, v37
	v_mov_b32_e32 v49, s10
	s_or_b64 s[8:9], vcc, s[8:9]
	v_add_u32_e32 v36, 0x2000, v36
	s_waitcnt lgkmcnt(1)
	global_store_dword v[44:45], v88, off
	global_store_dword v[86:87], v89, off
	v_lshl_add_u64 v[44:45], v[38:39], 2, v[34:35]
	v_lshl_add_u64 v[90:91], v[90:91], 2, v[34:35]
	s_waitcnt lgkmcnt(0)
	global_store_dword v[44:45], v92, off
	global_store_dword v[90:91], v93, off
	s_andn2_b64 exec, exec, s[8:9]
	s_cbranch_execnz .LBB37_185
; %bb.186:
	s_or_b64 exec, exec, s[8:9]
.LBB37_187:
	s_or_b64 exec, exec, s[6:7]
	v_and_b32_e32 v1, 7, v40
	v_cmp_ne_u32_e32 vcc, 0, v1
	s_and_saveexec_b64 s[6:7], vcc
	s_cbranch_execz .LBB37_190
; %bb.188:
	v_lshlrev_b32_e32 v38, 2, v0
	v_lshl_or_b32 v40, v49, 11, v38
	s_mov_b64 s[8:9], 0
	v_mov_b32_e32 v39, 0
.LBB37_189:                             ; =>This Inner Loop Header: Depth=1
	ds_read2st64_b32 v[42:43], v40 offset1:8
	v_add_u32_e32 v1, -1, v1
	v_mov_b32_e32 v38, v36
	v_cmp_eq_u32_e32 vcc, 0, v1
	v_add_u32_e32 v36, 0x400, v36
	v_add_u32_e32 v40, 0x1000, v40
	v_lshl_add_u64 v[44:45], v[38:39], 2, v[34:35]
	v_mov_b32_e32 v38, v37
	v_add_u32_e32 v37, 0x400, v37
	s_or_b64 s[8:9], vcc, s[8:9]
	v_lshl_add_u64 v[46:47], v[38:39], 2, v[34:35]
	s_waitcnt lgkmcnt(0)
	global_store_dword v[44:45], v42, off
	global_store_dword v[46:47], v43, off
	s_andn2_b64 exec, exec, s[8:9]
	s_cbranch_execnz .LBB37_189
.LBB37_190:
	s_or_b64 exec, exec, s[6:7]
	v_add_u32_e32 v1, 1, v17
	v_and_b32_e32 v17, 0xfffffe, v1
	v_cmp_ne_u32_e32 vcc, v1, v17
	v_lshl_or_b32 v36, v17, 9, v0
	s_orn2_b64 s[6:7], vcc, exec
.LBB37_191:
	s_or_b64 exec, exec, s[4:5]
	s_and_b64 exec, exec, s[6:7]
	s_cbranch_execz .LBB37_194
; %bb.192:
	v_lshlrev_b32_e32 v1, 2, v36
	s_mov_b64 s[4:5], 0
	v_mov_b32_e32 v37, 0
.LBB37_193:                             ; =>This Inner Loop Header: Depth=1
	ds_read_b32 v17, v1
	v_lshl_add_u64 v[38:39], v[36:37], 2, v[34:35]
	v_add_u32_e32 v36, 0x200, v36
	v_cmp_le_u32_e32 vcc, s16, v36
	v_add_u32_e32 v1, 0x800, v1
	s_or_b64 s[4:5], vcc, s[4:5]
	s_waitcnt lgkmcnt(0)
	global_store_dword v[38:39], v17, off
	s_andn2_b64 exec, exec, s[4:5]
	s_cbranch_execnz .LBB37_193
.LBB37_194:
	s_or_b64 exec, exec, s[0:1]
.LBB37_195:
	s_mov_b64 s[0:1], -1
	s_and_b64 vcc, exec, s[2:3]
	s_barrier
	s_cbranch_vccnz .LBB37_199
; %bb.196:
	s_and_b64 vcc, exec, s[0:1]
	s_cbranch_vccnz .LBB37_245
.LBB37_197:
	s_and_b64 s[0:1], s[18:19], s[34:35]
	s_and_saveexec_b64 s[2:3], s[0:1]
	s_cbranch_execnz .LBB37_289
.LBB37_198:
	s_endpgm
.LBB37_199:
	s_waitcnt vmcnt(0)
	v_lshlrev_b64 v[34:35], 2, v[18:19]
	v_cmp_lt_u32_e32 vcc, v2, v67
	v_lshl_add_u64 v[34:35], s[42:43], 0, v[34:35]
	s_or_b64 s[2:3], s[38:39], vcc
	s_and_saveexec_b64 s[0:1], s[2:3]
	s_cbranch_execz .LBB37_202
; %bb.200:
	v_cmp_eq_u32_e32 vcc, 1, v50
	s_and_b64 exec, exec, vcc
	s_cbranch_execz .LBB37_202
; %bb.201:
	v_mov_b32_e32 v37, 0
	v_mov_b32_e32 v36, v2
	v_lshl_add_u64 v[36:37], v[36:37], 2, v[34:35]
	global_store_dword v[36:37], v32, off
.LBB37_202:
	s_or_b64 exec, exec, s[0:1]
	v_cmp_lt_u32_e32 vcc, v3, v67
	s_or_b64 s[2:3], s[38:39], vcc
	s_and_saveexec_b64 s[0:1], s[2:3]
	s_cbranch_execz .LBB37_205
; %bb.203:
	v_and_b32_e32 v1, 1, v66
	v_cmp_eq_u32_e32 vcc, 1, v1
	s_and_b64 exec, exec, vcc
	s_cbranch_execz .LBB37_205
; %bb.204:
	v_mov_b32_e32 v37, 0
	v_mov_b32_e32 v36, v3
	v_lshl_add_u64 v[36:37], v[36:37], 2, v[34:35]
	global_store_dword v[36:37], v33, off
.LBB37_205:
	s_or_b64 exec, exec, s[0:1]
	v_cmp_lt_u32_e32 vcc, v4, v67
	s_or_b64 s[2:3], s[38:39], vcc
	s_and_saveexec_b64 s[0:1], s[2:3]
	s_cbranch_execz .LBB37_208
; %bb.206:
	v_and_b32_e32 v1, 1, v65
	v_cmp_eq_u32_e32 vcc, 1, v1
	s_and_b64 exec, exec, vcc
	s_cbranch_execz .LBB37_208
; %bb.207:
	v_mov_b32_e32 v37, 0
	v_mov_b32_e32 v36, v4
	v_lshl_add_u64 v[36:37], v[36:37], 2, v[34:35]
	global_store_dword v[36:37], v30, off
.LBB37_208:
	;; [unrolled: 16-line block ×13, first 2 shown]
	s_or_b64 exec, exec, s[0:1]
	v_cmp_lt_u32_e32 vcc, v16, v67
	s_or_b64 s[2:3], s[38:39], vcc
	s_and_saveexec_b64 s[0:1], s[2:3]
	s_cbranch_execz .LBB37_244
; %bb.242:
	v_and_b32_e32 v1, 1, v53
	v_cmp_eq_u32_e32 vcc, 1, v1
	s_and_b64 exec, exec, vcc
	s_cbranch_execz .LBB37_244
; %bb.243:
	v_mov_b32_e32 v17, 0
	v_lshl_add_u64 v[34:35], v[16:17], 2, v[34:35]
	global_store_dword v[34:35], v52, off
.LBB37_244:
	s_or_b64 exec, exec, s[0:1]
	s_branch .LBB37_197
.LBB37_245:
	v_cmp_eq_u32_e32 vcc, 1, v50
	s_and_saveexec_b64 s[0:1], vcc
	s_cbranch_execz .LBB37_247
; %bb.246:
	v_sub_u32_e32 v1, v2, v48
	v_lshlrev_b32_e32 v1, 2, v1
	ds_write_b32 v1, v32
.LBB37_247:
	s_or_b64 exec, exec, s[0:1]
	v_and_b32_e32 v1, 1, v66
	v_cmp_eq_u32_e32 vcc, 1, v1
	s_and_saveexec_b64 s[0:1], vcc
	s_cbranch_execz .LBB37_249
; %bb.248:
	v_sub_u32_e32 v1, v3, v48
	v_lshlrev_b32_e32 v1, 2, v1
	ds_write_b32 v1, v33
.LBB37_249:
	s_or_b64 exec, exec, s[0:1]
	v_and_b32_e32 v1, 1, v65
	;; [unrolled: 10-line block ×14, first 2 shown]
	v_cmp_eq_u32_e32 vcc, 1, v1
	s_and_saveexec_b64 s[0:1], vcc
	s_cbranch_execz .LBB37_275
; %bb.274:
	v_sub_u32_e32 v1, v16, v48
	v_lshlrev_b32_e32 v1, 2, v1
	ds_write_b32 v1, v52
.LBB37_275:
	s_or_b64 exec, exec, s[0:1]
	v_cmp_gt_u32_e32 vcc, s16, v0
	s_waitcnt lgkmcnt(0)
	s_barrier
	s_and_saveexec_b64 s[0:1], vcc
	s_cbranch_execz .LBB37_288
; %bb.276:
	v_mov_b32_e32 v49, 0
	s_waitcnt vmcnt(0)
	v_lshlrev_b64 v[2:3], 2, v[18:19]
	v_lshl_add_u64 v[2:3], s[42:43], 0, v[2:3]
	v_lshlrev_b64 v[4:5], 2, v[48:49]
	v_xad_u32 v1, v0, -1, s16
	s_movk_i32 s2, 0x1ff
	v_lshl_add_u64 v[2:3], v[2:3], 0, v[4:5]
	v_cmp_lt_u32_e32 vcc, s2, v1
	s_mov_b64 s[4:5], -1
	s_and_saveexec_b64 s[2:3], vcc
	s_cbranch_execz .LBB37_285
; %bb.277:
	v_lshrrev_b32_e32 v8, 9, v1
	v_add_u32_e32 v4, -1, v8
	v_or_b32_e32 v1, 0x200, v0
	v_lshrrev_b32_e32 v5, 1, v4
	v_add_u32_e32 v10, 1, v5
	v_cmp_lt_u32_e32 vcc, 13, v4
	v_lshlrev_b32_e32 v9, 2, v0
	v_mov_b64_e32 v[4:5], v[0:1]
	s_and_saveexec_b64 s[4:5], vcc
	s_cbranch_execz .LBB37_281
; %bb.278:
	v_and_b32_e32 v11, -8, v10
	s_mov_b32 s8, 0
	s_mov_b64 s[6:7], 0
	v_mov_b32_e32 v7, 0
	v_mov_b32_e32 v12, v9
	v_mov_b64_e32 v[4:5], v[0:1]
.LBB37_279:                             ; =>This Inner Loop Header: Depth=1
	ds_read2st64_b32 v[14:15], v12 offset1:8
	v_mov_b32_e32 v6, v4
	ds_read2st64_b32 v[28:29], v12 offset0:48 offset1:56
	v_lshl_add_u64 v[46:47], v[6:7], 2, v[2:3]
	v_mov_b32_e32 v6, v5
	ds_read2st64_b32 v[20:21], v12 offset0:16 offset1:24
	ds_read2st64_b32 v[32:33], v12 offset0:64 offset1:72
	v_lshl_add_u64 v[50:51], v[6:7], 2, v[2:3]
	v_add_u32_e32 v6, 0x400, v4
	ds_read2st64_b32 v[36:37], v12 offset0:80 offset1:88
	v_lshl_add_u64 v[52:53], v[6:7], 2, v[2:3]
	v_add_u32_e32 v6, 0x800, v4
	v_add_u32_e32 v16, 0x400, v5
	v_mov_b32_e32 v17, v7
	v_add_u32_e32 v22, 0x800, v5
	ds_read2st64_b32 v[24:25], v12 offset0:32 offset1:40
	v_mov_b32_e32 v23, v7
	ds_read2st64_b32 v[40:41], v12 offset0:96 offset1:104
	v_lshl_add_u64 v[54:55], v[6:7], 2, v[2:3]
	v_add_u32_e32 v6, 0xc00, v4
	v_add_u32_e32 v26, 0xc00, v5
	v_mov_b32_e32 v27, v7
	ds_read2st64_b32 v[44:45], v12 offset0:112 offset1:120
	v_lshl_add_u64 v[16:17], v[16:17], 2, v[2:3]
	v_lshl_add_u64 v[22:23], v[22:23], 2, v[2:3]
	s_waitcnt lgkmcnt(7)
	global_store_dword v[46:47], v14, off
	global_store_dword v[50:51], v15, off
	s_waitcnt lgkmcnt(5)
	global_store_dword v[52:53], v20, off
	global_store_dword v[16:17], v21, off
	;; [unrolled: 3-line block ×3, first 2 shown]
	v_lshl_add_u64 v[14:15], v[6:7], 2, v[2:3]
	v_add_u32_e32 v6, 0x1000, v4
	v_add_u32_e32 v30, 0x1000, v5
	v_mov_b32_e32 v31, v7
	v_lshl_add_u64 v[26:27], v[26:27], 2, v[2:3]
	global_store_dword v[14:15], v28, off
	global_store_dword v[26:27], v29, off
	v_lshl_add_u64 v[14:15], v[6:7], 2, v[2:3]
	v_add_u32_e32 v6, 0x1400, v4
	v_add_u32_e32 v34, 0x1400, v5
	v_mov_b32_e32 v35, v7
	v_add_u32_e32 v11, -8, v11
	v_lshl_add_u64 v[30:31], v[30:31], 2, v[2:3]
	global_store_dword v[14:15], v32, off
	global_store_dword v[30:31], v33, off
	v_lshl_add_u64 v[14:15], v[6:7], 2, v[2:3]
	v_add_u32_e32 v6, 0x1800, v4
	v_add_u32_e32 v38, 0x1800, v5
	v_mov_b32_e32 v39, v7
	s_add_i32 s8, s8, 16
	v_lshl_add_u64 v[34:35], v[34:35], 2, v[2:3]
	v_cmp_eq_u32_e32 vcc, 0, v11
	global_store_dword v[14:15], v36, off
	global_store_dword v[34:35], v37, off
	v_lshl_add_u64 v[14:15], v[6:7], 2, v[2:3]
	v_add_u32_e32 v6, 0x1c00, v4
	v_add_u32_e32 v42, 0x1c00, v5
	v_mov_b32_e32 v43, v7
	v_add_u32_e32 v12, 0x8000, v12
	v_lshl_add_u64 v[38:39], v[38:39], 2, v[2:3]
	v_add_u32_e32 v5, 0x2000, v5
	v_mov_b32_e32 v49, s8
	s_or_b64 s[6:7], vcc, s[6:7]
	v_add_u32_e32 v4, 0x2000, v4
	s_waitcnt lgkmcnt(1)
	global_store_dword v[14:15], v40, off
	global_store_dword v[38:39], v41, off
	v_lshl_add_u64 v[14:15], v[6:7], 2, v[2:3]
	v_lshl_add_u64 v[42:43], v[42:43], 2, v[2:3]
	s_waitcnt lgkmcnt(0)
	global_store_dword v[14:15], v44, off
	global_store_dword v[42:43], v45, off
	s_andn2_b64 exec, exec, s[6:7]
	s_cbranch_execnz .LBB37_279
; %bb.280:
	s_or_b64 exec, exec, s[6:7]
.LBB37_281:
	s_or_b64 exec, exec, s[4:5]
	v_and_b32_e32 v1, 7, v10
	v_cmp_ne_u32_e32 vcc, 0, v1
	s_and_saveexec_b64 s[4:5], vcc
	s_cbranch_execz .LBB37_284
; %bb.282:
	v_lshl_or_b32 v9, v49, 11, v9
	s_mov_b64 s[6:7], 0
	v_mov_b32_e32 v7, 0
.LBB37_283:                             ; =>This Inner Loop Header: Depth=1
	ds_read2st64_b32 v[10:11], v9 offset1:8
	v_add_u32_e32 v1, -1, v1
	v_mov_b32_e32 v6, v4
	v_cmp_eq_u32_e32 vcc, 0, v1
	v_add_u32_e32 v4, 0x400, v4
	v_add_u32_e32 v9, 0x1000, v9
	v_lshl_add_u64 v[12:13], v[6:7], 2, v[2:3]
	v_mov_b32_e32 v6, v5
	v_add_u32_e32 v5, 0x400, v5
	s_or_b64 s[6:7], vcc, s[6:7]
	v_lshl_add_u64 v[14:15], v[6:7], 2, v[2:3]
	s_waitcnt lgkmcnt(0)
	global_store_dword v[12:13], v10, off
	global_store_dword v[14:15], v11, off
	s_andn2_b64 exec, exec, s[6:7]
	s_cbranch_execnz .LBB37_283
.LBB37_284:
	s_or_b64 exec, exec, s[4:5]
	v_add_u32_e32 v1, 1, v8
	v_and_b32_e32 v4, 0xfffffe, v1
	v_cmp_ne_u32_e32 vcc, v1, v4
	v_lshl_or_b32 v0, v4, 9, v0
	s_orn2_b64 s[4:5], vcc, exec
.LBB37_285:
	s_or_b64 exec, exec, s[2:3]
	s_and_b64 exec, exec, s[4:5]
	s_cbranch_execz .LBB37_288
; %bb.286:
	v_lshlrev_b32_e32 v4, 2, v0
	s_mov_b64 s[2:3], 0
	v_mov_b32_e32 v1, 0
.LBB37_287:                             ; =>This Inner Loop Header: Depth=1
	ds_read_b32 v5, v4
	v_lshl_add_u64 v[6:7], v[0:1], 2, v[2:3]
	v_add_u32_e32 v0, 0x200, v0
	v_cmp_le_u32_e32 vcc, s16, v0
	v_add_u32_e32 v4, 0x800, v4
	s_or_b64 s[2:3], vcc, s[2:3]
	s_waitcnt lgkmcnt(0)
	global_store_dword v[6:7], v5, off
	s_andn2_b64 exec, exec, s[2:3]
	s_cbranch_execnz .LBB37_287
.LBB37_288:
	s_or_b64 exec, exec, s[0:1]
	s_and_b64 s[0:1], s[18:19], s[34:35]
	s_and_saveexec_b64 s[2:3], s[0:1]
	s_cbranch_execz .LBB37_198
.LBB37_289:
	s_mov_b32 s17, 0
	v_mov_b32_e32 v49, 0
	s_waitcnt vmcnt(0)
	v_lshl_add_u64 v[0:1], v[18:19], 0, s[16:17]
	v_lshl_add_u64 v[0:1], v[0:1], 0, v[48:49]
	global_store_dwordx2 v49, v[0:1], s[36:37]
	s_endpgm
	.section	.rodata,"a",@progbits
	.p2align	6, 0x0
	.amdhsa_kernel _ZN7rocprim17ROCPRIM_400000_NS6detail17trampoline_kernelINS0_14default_configENS1_25partition_config_selectorILNS1_17partition_subalgoE9EiibEEZZNS1_14partition_implILS5_9ELb0ES3_jPKiN6thrust23THRUST_200600_302600_NS17counting_iteratorIiNSB_11use_defaultESD_SD_EEPNS0_10empty_typeENS0_5tupleIJPiSF_EEENSH_IJSI_SG_EEENS0_18inequality_wrapperIN6hipcub16HIPCUB_304000_NS8EqualityEEEPlJSF_EEE10hipError_tPvRmT3_T4_T5_T6_T7_T9_mT8_P12ihipStream_tbDpT10_ENKUlT_T0_E_clISt17integral_constantIbLb0EES19_IbLb1EEEEDaS15_S16_EUlS15_E_NS1_11comp_targetILNS1_3genE5ELNS1_11target_archE942ELNS1_3gpuE9ELNS1_3repE0EEENS1_30default_config_static_selectorELNS0_4arch9wavefront6targetE1EEEvT1_
		.amdhsa_group_segment_fixed_size 30728
		.amdhsa_private_segment_fixed_size 0
		.amdhsa_kernarg_size 128
		.amdhsa_user_sgpr_count 2
		.amdhsa_user_sgpr_dispatch_ptr 0
		.amdhsa_user_sgpr_queue_ptr 0
		.amdhsa_user_sgpr_kernarg_segment_ptr 1
		.amdhsa_user_sgpr_dispatch_id 0
		.amdhsa_user_sgpr_kernarg_preload_length 0
		.amdhsa_user_sgpr_kernarg_preload_offset 0
		.amdhsa_user_sgpr_private_segment_size 0
		.amdhsa_uses_dynamic_stack 0
		.amdhsa_enable_private_segment 0
		.amdhsa_system_sgpr_workgroup_id_x 1
		.amdhsa_system_sgpr_workgroup_id_y 0
		.amdhsa_system_sgpr_workgroup_id_z 0
		.amdhsa_system_sgpr_workgroup_info 0
		.amdhsa_system_vgpr_workitem_id 0
		.amdhsa_next_free_vgpr 102
		.amdhsa_next_free_sgpr 53
		.amdhsa_accum_offset 104
		.amdhsa_reserve_vcc 1
		.amdhsa_float_round_mode_32 0
		.amdhsa_float_round_mode_16_64 0
		.amdhsa_float_denorm_mode_32 3
		.amdhsa_float_denorm_mode_16_64 3
		.amdhsa_dx10_clamp 1
		.amdhsa_ieee_mode 1
		.amdhsa_fp16_overflow 0
		.amdhsa_tg_split 0
		.amdhsa_exception_fp_ieee_invalid_op 0
		.amdhsa_exception_fp_denorm_src 0
		.amdhsa_exception_fp_ieee_div_zero 0
		.amdhsa_exception_fp_ieee_overflow 0
		.amdhsa_exception_fp_ieee_underflow 0
		.amdhsa_exception_fp_ieee_inexact 0
		.amdhsa_exception_int_div_zero 0
	.end_amdhsa_kernel
	.section	.text._ZN7rocprim17ROCPRIM_400000_NS6detail17trampoline_kernelINS0_14default_configENS1_25partition_config_selectorILNS1_17partition_subalgoE9EiibEEZZNS1_14partition_implILS5_9ELb0ES3_jPKiN6thrust23THRUST_200600_302600_NS17counting_iteratorIiNSB_11use_defaultESD_SD_EEPNS0_10empty_typeENS0_5tupleIJPiSF_EEENSH_IJSI_SG_EEENS0_18inequality_wrapperIN6hipcub16HIPCUB_304000_NS8EqualityEEEPlJSF_EEE10hipError_tPvRmT3_T4_T5_T6_T7_T9_mT8_P12ihipStream_tbDpT10_ENKUlT_T0_E_clISt17integral_constantIbLb0EES19_IbLb1EEEEDaS15_S16_EUlS15_E_NS1_11comp_targetILNS1_3genE5ELNS1_11target_archE942ELNS1_3gpuE9ELNS1_3repE0EEENS1_30default_config_static_selectorELNS0_4arch9wavefront6targetE1EEEvT1_,"axG",@progbits,_ZN7rocprim17ROCPRIM_400000_NS6detail17trampoline_kernelINS0_14default_configENS1_25partition_config_selectorILNS1_17partition_subalgoE9EiibEEZZNS1_14partition_implILS5_9ELb0ES3_jPKiN6thrust23THRUST_200600_302600_NS17counting_iteratorIiNSB_11use_defaultESD_SD_EEPNS0_10empty_typeENS0_5tupleIJPiSF_EEENSH_IJSI_SG_EEENS0_18inequality_wrapperIN6hipcub16HIPCUB_304000_NS8EqualityEEEPlJSF_EEE10hipError_tPvRmT3_T4_T5_T6_T7_T9_mT8_P12ihipStream_tbDpT10_ENKUlT_T0_E_clISt17integral_constantIbLb0EES19_IbLb1EEEEDaS15_S16_EUlS15_E_NS1_11comp_targetILNS1_3genE5ELNS1_11target_archE942ELNS1_3gpuE9ELNS1_3repE0EEENS1_30default_config_static_selectorELNS0_4arch9wavefront6targetE1EEEvT1_,comdat
.Lfunc_end37:
	.size	_ZN7rocprim17ROCPRIM_400000_NS6detail17trampoline_kernelINS0_14default_configENS1_25partition_config_selectorILNS1_17partition_subalgoE9EiibEEZZNS1_14partition_implILS5_9ELb0ES3_jPKiN6thrust23THRUST_200600_302600_NS17counting_iteratorIiNSB_11use_defaultESD_SD_EEPNS0_10empty_typeENS0_5tupleIJPiSF_EEENSH_IJSI_SG_EEENS0_18inequality_wrapperIN6hipcub16HIPCUB_304000_NS8EqualityEEEPlJSF_EEE10hipError_tPvRmT3_T4_T5_T6_T7_T9_mT8_P12ihipStream_tbDpT10_ENKUlT_T0_E_clISt17integral_constantIbLb0EES19_IbLb1EEEEDaS15_S16_EUlS15_E_NS1_11comp_targetILNS1_3genE5ELNS1_11target_archE942ELNS1_3gpuE9ELNS1_3repE0EEENS1_30default_config_static_selectorELNS0_4arch9wavefront6targetE1EEEvT1_, .Lfunc_end37-_ZN7rocprim17ROCPRIM_400000_NS6detail17trampoline_kernelINS0_14default_configENS1_25partition_config_selectorILNS1_17partition_subalgoE9EiibEEZZNS1_14partition_implILS5_9ELb0ES3_jPKiN6thrust23THRUST_200600_302600_NS17counting_iteratorIiNSB_11use_defaultESD_SD_EEPNS0_10empty_typeENS0_5tupleIJPiSF_EEENSH_IJSI_SG_EEENS0_18inequality_wrapperIN6hipcub16HIPCUB_304000_NS8EqualityEEEPlJSF_EEE10hipError_tPvRmT3_T4_T5_T6_T7_T9_mT8_P12ihipStream_tbDpT10_ENKUlT_T0_E_clISt17integral_constantIbLb0EES19_IbLb1EEEEDaS15_S16_EUlS15_E_NS1_11comp_targetILNS1_3genE5ELNS1_11target_archE942ELNS1_3gpuE9ELNS1_3repE0EEENS1_30default_config_static_selectorELNS0_4arch9wavefront6targetE1EEEvT1_
                                        ; -- End function
	.section	.AMDGPU.csdata,"",@progbits
; Kernel info:
; codeLenInByte = 10852
; NumSgprs: 59
; NumVgprs: 102
; NumAgprs: 0
; TotalNumVgprs: 102
; ScratchSize: 0
; MemoryBound: 0
; FloatMode: 240
; IeeeMode: 1
; LDSByteSize: 30728 bytes/workgroup (compile time only)
; SGPRBlocks: 7
; VGPRBlocks: 12
; NumSGPRsForWavesPerEU: 59
; NumVGPRsForWavesPerEU: 102
; AccumOffset: 104
; Occupancy: 4
; WaveLimiterHint : 1
; COMPUTE_PGM_RSRC2:SCRATCH_EN: 0
; COMPUTE_PGM_RSRC2:USER_SGPR: 2
; COMPUTE_PGM_RSRC2:TRAP_HANDLER: 0
; COMPUTE_PGM_RSRC2:TGID_X_EN: 1
; COMPUTE_PGM_RSRC2:TGID_Y_EN: 0
; COMPUTE_PGM_RSRC2:TGID_Z_EN: 0
; COMPUTE_PGM_RSRC2:TIDIG_COMP_CNT: 0
; COMPUTE_PGM_RSRC3_GFX90A:ACCUM_OFFSET: 25
; COMPUTE_PGM_RSRC3_GFX90A:TG_SPLIT: 0
	.section	.text._ZN7rocprim17ROCPRIM_400000_NS6detail17trampoline_kernelINS0_14default_configENS1_25partition_config_selectorILNS1_17partition_subalgoE9EiibEEZZNS1_14partition_implILS5_9ELb0ES3_jPKiN6thrust23THRUST_200600_302600_NS17counting_iteratorIiNSB_11use_defaultESD_SD_EEPNS0_10empty_typeENS0_5tupleIJPiSF_EEENSH_IJSI_SG_EEENS0_18inequality_wrapperIN6hipcub16HIPCUB_304000_NS8EqualityEEEPlJSF_EEE10hipError_tPvRmT3_T4_T5_T6_T7_T9_mT8_P12ihipStream_tbDpT10_ENKUlT_T0_E_clISt17integral_constantIbLb0EES19_IbLb1EEEEDaS15_S16_EUlS15_E_NS1_11comp_targetILNS1_3genE4ELNS1_11target_archE910ELNS1_3gpuE8ELNS1_3repE0EEENS1_30default_config_static_selectorELNS0_4arch9wavefront6targetE1EEEvT1_,"axG",@progbits,_ZN7rocprim17ROCPRIM_400000_NS6detail17trampoline_kernelINS0_14default_configENS1_25partition_config_selectorILNS1_17partition_subalgoE9EiibEEZZNS1_14partition_implILS5_9ELb0ES3_jPKiN6thrust23THRUST_200600_302600_NS17counting_iteratorIiNSB_11use_defaultESD_SD_EEPNS0_10empty_typeENS0_5tupleIJPiSF_EEENSH_IJSI_SG_EEENS0_18inequality_wrapperIN6hipcub16HIPCUB_304000_NS8EqualityEEEPlJSF_EEE10hipError_tPvRmT3_T4_T5_T6_T7_T9_mT8_P12ihipStream_tbDpT10_ENKUlT_T0_E_clISt17integral_constantIbLb0EES19_IbLb1EEEEDaS15_S16_EUlS15_E_NS1_11comp_targetILNS1_3genE4ELNS1_11target_archE910ELNS1_3gpuE8ELNS1_3repE0EEENS1_30default_config_static_selectorELNS0_4arch9wavefront6targetE1EEEvT1_,comdat
	.protected	_ZN7rocprim17ROCPRIM_400000_NS6detail17trampoline_kernelINS0_14default_configENS1_25partition_config_selectorILNS1_17partition_subalgoE9EiibEEZZNS1_14partition_implILS5_9ELb0ES3_jPKiN6thrust23THRUST_200600_302600_NS17counting_iteratorIiNSB_11use_defaultESD_SD_EEPNS0_10empty_typeENS0_5tupleIJPiSF_EEENSH_IJSI_SG_EEENS0_18inequality_wrapperIN6hipcub16HIPCUB_304000_NS8EqualityEEEPlJSF_EEE10hipError_tPvRmT3_T4_T5_T6_T7_T9_mT8_P12ihipStream_tbDpT10_ENKUlT_T0_E_clISt17integral_constantIbLb0EES19_IbLb1EEEEDaS15_S16_EUlS15_E_NS1_11comp_targetILNS1_3genE4ELNS1_11target_archE910ELNS1_3gpuE8ELNS1_3repE0EEENS1_30default_config_static_selectorELNS0_4arch9wavefront6targetE1EEEvT1_ ; -- Begin function _ZN7rocprim17ROCPRIM_400000_NS6detail17trampoline_kernelINS0_14default_configENS1_25partition_config_selectorILNS1_17partition_subalgoE9EiibEEZZNS1_14partition_implILS5_9ELb0ES3_jPKiN6thrust23THRUST_200600_302600_NS17counting_iteratorIiNSB_11use_defaultESD_SD_EEPNS0_10empty_typeENS0_5tupleIJPiSF_EEENSH_IJSI_SG_EEENS0_18inequality_wrapperIN6hipcub16HIPCUB_304000_NS8EqualityEEEPlJSF_EEE10hipError_tPvRmT3_T4_T5_T6_T7_T9_mT8_P12ihipStream_tbDpT10_ENKUlT_T0_E_clISt17integral_constantIbLb0EES19_IbLb1EEEEDaS15_S16_EUlS15_E_NS1_11comp_targetILNS1_3genE4ELNS1_11target_archE910ELNS1_3gpuE8ELNS1_3repE0EEENS1_30default_config_static_selectorELNS0_4arch9wavefront6targetE1EEEvT1_
	.globl	_ZN7rocprim17ROCPRIM_400000_NS6detail17trampoline_kernelINS0_14default_configENS1_25partition_config_selectorILNS1_17partition_subalgoE9EiibEEZZNS1_14partition_implILS5_9ELb0ES3_jPKiN6thrust23THRUST_200600_302600_NS17counting_iteratorIiNSB_11use_defaultESD_SD_EEPNS0_10empty_typeENS0_5tupleIJPiSF_EEENSH_IJSI_SG_EEENS0_18inequality_wrapperIN6hipcub16HIPCUB_304000_NS8EqualityEEEPlJSF_EEE10hipError_tPvRmT3_T4_T5_T6_T7_T9_mT8_P12ihipStream_tbDpT10_ENKUlT_T0_E_clISt17integral_constantIbLb0EES19_IbLb1EEEEDaS15_S16_EUlS15_E_NS1_11comp_targetILNS1_3genE4ELNS1_11target_archE910ELNS1_3gpuE8ELNS1_3repE0EEENS1_30default_config_static_selectorELNS0_4arch9wavefront6targetE1EEEvT1_
	.p2align	8
	.type	_ZN7rocprim17ROCPRIM_400000_NS6detail17trampoline_kernelINS0_14default_configENS1_25partition_config_selectorILNS1_17partition_subalgoE9EiibEEZZNS1_14partition_implILS5_9ELb0ES3_jPKiN6thrust23THRUST_200600_302600_NS17counting_iteratorIiNSB_11use_defaultESD_SD_EEPNS0_10empty_typeENS0_5tupleIJPiSF_EEENSH_IJSI_SG_EEENS0_18inequality_wrapperIN6hipcub16HIPCUB_304000_NS8EqualityEEEPlJSF_EEE10hipError_tPvRmT3_T4_T5_T6_T7_T9_mT8_P12ihipStream_tbDpT10_ENKUlT_T0_E_clISt17integral_constantIbLb0EES19_IbLb1EEEEDaS15_S16_EUlS15_E_NS1_11comp_targetILNS1_3genE4ELNS1_11target_archE910ELNS1_3gpuE8ELNS1_3repE0EEENS1_30default_config_static_selectorELNS0_4arch9wavefront6targetE1EEEvT1_,@function
_ZN7rocprim17ROCPRIM_400000_NS6detail17trampoline_kernelINS0_14default_configENS1_25partition_config_selectorILNS1_17partition_subalgoE9EiibEEZZNS1_14partition_implILS5_9ELb0ES3_jPKiN6thrust23THRUST_200600_302600_NS17counting_iteratorIiNSB_11use_defaultESD_SD_EEPNS0_10empty_typeENS0_5tupleIJPiSF_EEENSH_IJSI_SG_EEENS0_18inequality_wrapperIN6hipcub16HIPCUB_304000_NS8EqualityEEEPlJSF_EEE10hipError_tPvRmT3_T4_T5_T6_T7_T9_mT8_P12ihipStream_tbDpT10_ENKUlT_T0_E_clISt17integral_constantIbLb0EES19_IbLb1EEEEDaS15_S16_EUlS15_E_NS1_11comp_targetILNS1_3genE4ELNS1_11target_archE910ELNS1_3gpuE8ELNS1_3repE0EEENS1_30default_config_static_selectorELNS0_4arch9wavefront6targetE1EEEvT1_: ; @_ZN7rocprim17ROCPRIM_400000_NS6detail17trampoline_kernelINS0_14default_configENS1_25partition_config_selectorILNS1_17partition_subalgoE9EiibEEZZNS1_14partition_implILS5_9ELb0ES3_jPKiN6thrust23THRUST_200600_302600_NS17counting_iteratorIiNSB_11use_defaultESD_SD_EEPNS0_10empty_typeENS0_5tupleIJPiSF_EEENSH_IJSI_SG_EEENS0_18inequality_wrapperIN6hipcub16HIPCUB_304000_NS8EqualityEEEPlJSF_EEE10hipError_tPvRmT3_T4_T5_T6_T7_T9_mT8_P12ihipStream_tbDpT10_ENKUlT_T0_E_clISt17integral_constantIbLb0EES19_IbLb1EEEEDaS15_S16_EUlS15_E_NS1_11comp_targetILNS1_3genE4ELNS1_11target_archE910ELNS1_3gpuE8ELNS1_3repE0EEENS1_30default_config_static_selectorELNS0_4arch9wavefront6targetE1EEEvT1_
; %bb.0:
	.section	.rodata,"a",@progbits
	.p2align	6, 0x0
	.amdhsa_kernel _ZN7rocprim17ROCPRIM_400000_NS6detail17trampoline_kernelINS0_14default_configENS1_25partition_config_selectorILNS1_17partition_subalgoE9EiibEEZZNS1_14partition_implILS5_9ELb0ES3_jPKiN6thrust23THRUST_200600_302600_NS17counting_iteratorIiNSB_11use_defaultESD_SD_EEPNS0_10empty_typeENS0_5tupleIJPiSF_EEENSH_IJSI_SG_EEENS0_18inequality_wrapperIN6hipcub16HIPCUB_304000_NS8EqualityEEEPlJSF_EEE10hipError_tPvRmT3_T4_T5_T6_T7_T9_mT8_P12ihipStream_tbDpT10_ENKUlT_T0_E_clISt17integral_constantIbLb0EES19_IbLb1EEEEDaS15_S16_EUlS15_E_NS1_11comp_targetILNS1_3genE4ELNS1_11target_archE910ELNS1_3gpuE8ELNS1_3repE0EEENS1_30default_config_static_selectorELNS0_4arch9wavefront6targetE1EEEvT1_
		.amdhsa_group_segment_fixed_size 0
		.amdhsa_private_segment_fixed_size 0
		.amdhsa_kernarg_size 128
		.amdhsa_user_sgpr_count 2
		.amdhsa_user_sgpr_dispatch_ptr 0
		.amdhsa_user_sgpr_queue_ptr 0
		.amdhsa_user_sgpr_kernarg_segment_ptr 1
		.amdhsa_user_sgpr_dispatch_id 0
		.amdhsa_user_sgpr_kernarg_preload_length 0
		.amdhsa_user_sgpr_kernarg_preload_offset 0
		.amdhsa_user_sgpr_private_segment_size 0
		.amdhsa_uses_dynamic_stack 0
		.amdhsa_enable_private_segment 0
		.amdhsa_system_sgpr_workgroup_id_x 1
		.amdhsa_system_sgpr_workgroup_id_y 0
		.amdhsa_system_sgpr_workgroup_id_z 0
		.amdhsa_system_sgpr_workgroup_info 0
		.amdhsa_system_vgpr_workitem_id 0
		.amdhsa_next_free_vgpr 1
		.amdhsa_next_free_sgpr 0
		.amdhsa_accum_offset 4
		.amdhsa_reserve_vcc 0
		.amdhsa_float_round_mode_32 0
		.amdhsa_float_round_mode_16_64 0
		.amdhsa_float_denorm_mode_32 3
		.amdhsa_float_denorm_mode_16_64 3
		.amdhsa_dx10_clamp 1
		.amdhsa_ieee_mode 1
		.amdhsa_fp16_overflow 0
		.amdhsa_tg_split 0
		.amdhsa_exception_fp_ieee_invalid_op 0
		.amdhsa_exception_fp_denorm_src 0
		.amdhsa_exception_fp_ieee_div_zero 0
		.amdhsa_exception_fp_ieee_overflow 0
		.amdhsa_exception_fp_ieee_underflow 0
		.amdhsa_exception_fp_ieee_inexact 0
		.amdhsa_exception_int_div_zero 0
	.end_amdhsa_kernel
	.section	.text._ZN7rocprim17ROCPRIM_400000_NS6detail17trampoline_kernelINS0_14default_configENS1_25partition_config_selectorILNS1_17partition_subalgoE9EiibEEZZNS1_14partition_implILS5_9ELb0ES3_jPKiN6thrust23THRUST_200600_302600_NS17counting_iteratorIiNSB_11use_defaultESD_SD_EEPNS0_10empty_typeENS0_5tupleIJPiSF_EEENSH_IJSI_SG_EEENS0_18inequality_wrapperIN6hipcub16HIPCUB_304000_NS8EqualityEEEPlJSF_EEE10hipError_tPvRmT3_T4_T5_T6_T7_T9_mT8_P12ihipStream_tbDpT10_ENKUlT_T0_E_clISt17integral_constantIbLb0EES19_IbLb1EEEEDaS15_S16_EUlS15_E_NS1_11comp_targetILNS1_3genE4ELNS1_11target_archE910ELNS1_3gpuE8ELNS1_3repE0EEENS1_30default_config_static_selectorELNS0_4arch9wavefront6targetE1EEEvT1_,"axG",@progbits,_ZN7rocprim17ROCPRIM_400000_NS6detail17trampoline_kernelINS0_14default_configENS1_25partition_config_selectorILNS1_17partition_subalgoE9EiibEEZZNS1_14partition_implILS5_9ELb0ES3_jPKiN6thrust23THRUST_200600_302600_NS17counting_iteratorIiNSB_11use_defaultESD_SD_EEPNS0_10empty_typeENS0_5tupleIJPiSF_EEENSH_IJSI_SG_EEENS0_18inequality_wrapperIN6hipcub16HIPCUB_304000_NS8EqualityEEEPlJSF_EEE10hipError_tPvRmT3_T4_T5_T6_T7_T9_mT8_P12ihipStream_tbDpT10_ENKUlT_T0_E_clISt17integral_constantIbLb0EES19_IbLb1EEEEDaS15_S16_EUlS15_E_NS1_11comp_targetILNS1_3genE4ELNS1_11target_archE910ELNS1_3gpuE8ELNS1_3repE0EEENS1_30default_config_static_selectorELNS0_4arch9wavefront6targetE1EEEvT1_,comdat
.Lfunc_end38:
	.size	_ZN7rocprim17ROCPRIM_400000_NS6detail17trampoline_kernelINS0_14default_configENS1_25partition_config_selectorILNS1_17partition_subalgoE9EiibEEZZNS1_14partition_implILS5_9ELb0ES3_jPKiN6thrust23THRUST_200600_302600_NS17counting_iteratorIiNSB_11use_defaultESD_SD_EEPNS0_10empty_typeENS0_5tupleIJPiSF_EEENSH_IJSI_SG_EEENS0_18inequality_wrapperIN6hipcub16HIPCUB_304000_NS8EqualityEEEPlJSF_EEE10hipError_tPvRmT3_T4_T5_T6_T7_T9_mT8_P12ihipStream_tbDpT10_ENKUlT_T0_E_clISt17integral_constantIbLb0EES19_IbLb1EEEEDaS15_S16_EUlS15_E_NS1_11comp_targetILNS1_3genE4ELNS1_11target_archE910ELNS1_3gpuE8ELNS1_3repE0EEENS1_30default_config_static_selectorELNS0_4arch9wavefront6targetE1EEEvT1_, .Lfunc_end38-_ZN7rocprim17ROCPRIM_400000_NS6detail17trampoline_kernelINS0_14default_configENS1_25partition_config_selectorILNS1_17partition_subalgoE9EiibEEZZNS1_14partition_implILS5_9ELb0ES3_jPKiN6thrust23THRUST_200600_302600_NS17counting_iteratorIiNSB_11use_defaultESD_SD_EEPNS0_10empty_typeENS0_5tupleIJPiSF_EEENSH_IJSI_SG_EEENS0_18inequality_wrapperIN6hipcub16HIPCUB_304000_NS8EqualityEEEPlJSF_EEE10hipError_tPvRmT3_T4_T5_T6_T7_T9_mT8_P12ihipStream_tbDpT10_ENKUlT_T0_E_clISt17integral_constantIbLb0EES19_IbLb1EEEEDaS15_S16_EUlS15_E_NS1_11comp_targetILNS1_3genE4ELNS1_11target_archE910ELNS1_3gpuE8ELNS1_3repE0EEENS1_30default_config_static_selectorELNS0_4arch9wavefront6targetE1EEEvT1_
                                        ; -- End function
	.section	.AMDGPU.csdata,"",@progbits
; Kernel info:
; codeLenInByte = 0
; NumSgprs: 6
; NumVgprs: 0
; NumAgprs: 0
; TotalNumVgprs: 0
; ScratchSize: 0
; MemoryBound: 0
; FloatMode: 240
; IeeeMode: 1
; LDSByteSize: 0 bytes/workgroup (compile time only)
; SGPRBlocks: 0
; VGPRBlocks: 0
; NumSGPRsForWavesPerEU: 6
; NumVGPRsForWavesPerEU: 1
; AccumOffset: 4
; Occupancy: 8
; WaveLimiterHint : 0
; COMPUTE_PGM_RSRC2:SCRATCH_EN: 0
; COMPUTE_PGM_RSRC2:USER_SGPR: 2
; COMPUTE_PGM_RSRC2:TRAP_HANDLER: 0
; COMPUTE_PGM_RSRC2:TGID_X_EN: 1
; COMPUTE_PGM_RSRC2:TGID_Y_EN: 0
; COMPUTE_PGM_RSRC2:TGID_Z_EN: 0
; COMPUTE_PGM_RSRC2:TIDIG_COMP_CNT: 0
; COMPUTE_PGM_RSRC3_GFX90A:ACCUM_OFFSET: 0
; COMPUTE_PGM_RSRC3_GFX90A:TG_SPLIT: 0
	.section	.text._ZN7rocprim17ROCPRIM_400000_NS6detail17trampoline_kernelINS0_14default_configENS1_25partition_config_selectorILNS1_17partition_subalgoE9EiibEEZZNS1_14partition_implILS5_9ELb0ES3_jPKiN6thrust23THRUST_200600_302600_NS17counting_iteratorIiNSB_11use_defaultESD_SD_EEPNS0_10empty_typeENS0_5tupleIJPiSF_EEENSH_IJSI_SG_EEENS0_18inequality_wrapperIN6hipcub16HIPCUB_304000_NS8EqualityEEEPlJSF_EEE10hipError_tPvRmT3_T4_T5_T6_T7_T9_mT8_P12ihipStream_tbDpT10_ENKUlT_T0_E_clISt17integral_constantIbLb0EES19_IbLb1EEEEDaS15_S16_EUlS15_E_NS1_11comp_targetILNS1_3genE3ELNS1_11target_archE908ELNS1_3gpuE7ELNS1_3repE0EEENS1_30default_config_static_selectorELNS0_4arch9wavefront6targetE1EEEvT1_,"axG",@progbits,_ZN7rocprim17ROCPRIM_400000_NS6detail17trampoline_kernelINS0_14default_configENS1_25partition_config_selectorILNS1_17partition_subalgoE9EiibEEZZNS1_14partition_implILS5_9ELb0ES3_jPKiN6thrust23THRUST_200600_302600_NS17counting_iteratorIiNSB_11use_defaultESD_SD_EEPNS0_10empty_typeENS0_5tupleIJPiSF_EEENSH_IJSI_SG_EEENS0_18inequality_wrapperIN6hipcub16HIPCUB_304000_NS8EqualityEEEPlJSF_EEE10hipError_tPvRmT3_T4_T5_T6_T7_T9_mT8_P12ihipStream_tbDpT10_ENKUlT_T0_E_clISt17integral_constantIbLb0EES19_IbLb1EEEEDaS15_S16_EUlS15_E_NS1_11comp_targetILNS1_3genE3ELNS1_11target_archE908ELNS1_3gpuE7ELNS1_3repE0EEENS1_30default_config_static_selectorELNS0_4arch9wavefront6targetE1EEEvT1_,comdat
	.protected	_ZN7rocprim17ROCPRIM_400000_NS6detail17trampoline_kernelINS0_14default_configENS1_25partition_config_selectorILNS1_17partition_subalgoE9EiibEEZZNS1_14partition_implILS5_9ELb0ES3_jPKiN6thrust23THRUST_200600_302600_NS17counting_iteratorIiNSB_11use_defaultESD_SD_EEPNS0_10empty_typeENS0_5tupleIJPiSF_EEENSH_IJSI_SG_EEENS0_18inequality_wrapperIN6hipcub16HIPCUB_304000_NS8EqualityEEEPlJSF_EEE10hipError_tPvRmT3_T4_T5_T6_T7_T9_mT8_P12ihipStream_tbDpT10_ENKUlT_T0_E_clISt17integral_constantIbLb0EES19_IbLb1EEEEDaS15_S16_EUlS15_E_NS1_11comp_targetILNS1_3genE3ELNS1_11target_archE908ELNS1_3gpuE7ELNS1_3repE0EEENS1_30default_config_static_selectorELNS0_4arch9wavefront6targetE1EEEvT1_ ; -- Begin function _ZN7rocprim17ROCPRIM_400000_NS6detail17trampoline_kernelINS0_14default_configENS1_25partition_config_selectorILNS1_17partition_subalgoE9EiibEEZZNS1_14partition_implILS5_9ELb0ES3_jPKiN6thrust23THRUST_200600_302600_NS17counting_iteratorIiNSB_11use_defaultESD_SD_EEPNS0_10empty_typeENS0_5tupleIJPiSF_EEENSH_IJSI_SG_EEENS0_18inequality_wrapperIN6hipcub16HIPCUB_304000_NS8EqualityEEEPlJSF_EEE10hipError_tPvRmT3_T4_T5_T6_T7_T9_mT8_P12ihipStream_tbDpT10_ENKUlT_T0_E_clISt17integral_constantIbLb0EES19_IbLb1EEEEDaS15_S16_EUlS15_E_NS1_11comp_targetILNS1_3genE3ELNS1_11target_archE908ELNS1_3gpuE7ELNS1_3repE0EEENS1_30default_config_static_selectorELNS0_4arch9wavefront6targetE1EEEvT1_
	.globl	_ZN7rocprim17ROCPRIM_400000_NS6detail17trampoline_kernelINS0_14default_configENS1_25partition_config_selectorILNS1_17partition_subalgoE9EiibEEZZNS1_14partition_implILS5_9ELb0ES3_jPKiN6thrust23THRUST_200600_302600_NS17counting_iteratorIiNSB_11use_defaultESD_SD_EEPNS0_10empty_typeENS0_5tupleIJPiSF_EEENSH_IJSI_SG_EEENS0_18inequality_wrapperIN6hipcub16HIPCUB_304000_NS8EqualityEEEPlJSF_EEE10hipError_tPvRmT3_T4_T5_T6_T7_T9_mT8_P12ihipStream_tbDpT10_ENKUlT_T0_E_clISt17integral_constantIbLb0EES19_IbLb1EEEEDaS15_S16_EUlS15_E_NS1_11comp_targetILNS1_3genE3ELNS1_11target_archE908ELNS1_3gpuE7ELNS1_3repE0EEENS1_30default_config_static_selectorELNS0_4arch9wavefront6targetE1EEEvT1_
	.p2align	8
	.type	_ZN7rocprim17ROCPRIM_400000_NS6detail17trampoline_kernelINS0_14default_configENS1_25partition_config_selectorILNS1_17partition_subalgoE9EiibEEZZNS1_14partition_implILS5_9ELb0ES3_jPKiN6thrust23THRUST_200600_302600_NS17counting_iteratorIiNSB_11use_defaultESD_SD_EEPNS0_10empty_typeENS0_5tupleIJPiSF_EEENSH_IJSI_SG_EEENS0_18inequality_wrapperIN6hipcub16HIPCUB_304000_NS8EqualityEEEPlJSF_EEE10hipError_tPvRmT3_T4_T5_T6_T7_T9_mT8_P12ihipStream_tbDpT10_ENKUlT_T0_E_clISt17integral_constantIbLb0EES19_IbLb1EEEEDaS15_S16_EUlS15_E_NS1_11comp_targetILNS1_3genE3ELNS1_11target_archE908ELNS1_3gpuE7ELNS1_3repE0EEENS1_30default_config_static_selectorELNS0_4arch9wavefront6targetE1EEEvT1_,@function
_ZN7rocprim17ROCPRIM_400000_NS6detail17trampoline_kernelINS0_14default_configENS1_25partition_config_selectorILNS1_17partition_subalgoE9EiibEEZZNS1_14partition_implILS5_9ELb0ES3_jPKiN6thrust23THRUST_200600_302600_NS17counting_iteratorIiNSB_11use_defaultESD_SD_EEPNS0_10empty_typeENS0_5tupleIJPiSF_EEENSH_IJSI_SG_EEENS0_18inequality_wrapperIN6hipcub16HIPCUB_304000_NS8EqualityEEEPlJSF_EEE10hipError_tPvRmT3_T4_T5_T6_T7_T9_mT8_P12ihipStream_tbDpT10_ENKUlT_T0_E_clISt17integral_constantIbLb0EES19_IbLb1EEEEDaS15_S16_EUlS15_E_NS1_11comp_targetILNS1_3genE3ELNS1_11target_archE908ELNS1_3gpuE7ELNS1_3repE0EEENS1_30default_config_static_selectorELNS0_4arch9wavefront6targetE1EEEvT1_: ; @_ZN7rocprim17ROCPRIM_400000_NS6detail17trampoline_kernelINS0_14default_configENS1_25partition_config_selectorILNS1_17partition_subalgoE9EiibEEZZNS1_14partition_implILS5_9ELb0ES3_jPKiN6thrust23THRUST_200600_302600_NS17counting_iteratorIiNSB_11use_defaultESD_SD_EEPNS0_10empty_typeENS0_5tupleIJPiSF_EEENSH_IJSI_SG_EEENS0_18inequality_wrapperIN6hipcub16HIPCUB_304000_NS8EqualityEEEPlJSF_EEE10hipError_tPvRmT3_T4_T5_T6_T7_T9_mT8_P12ihipStream_tbDpT10_ENKUlT_T0_E_clISt17integral_constantIbLb0EES19_IbLb1EEEEDaS15_S16_EUlS15_E_NS1_11comp_targetILNS1_3genE3ELNS1_11target_archE908ELNS1_3gpuE7ELNS1_3repE0EEENS1_30default_config_static_selectorELNS0_4arch9wavefront6targetE1EEEvT1_
; %bb.0:
	.section	.rodata,"a",@progbits
	.p2align	6, 0x0
	.amdhsa_kernel _ZN7rocprim17ROCPRIM_400000_NS6detail17trampoline_kernelINS0_14default_configENS1_25partition_config_selectorILNS1_17partition_subalgoE9EiibEEZZNS1_14partition_implILS5_9ELb0ES3_jPKiN6thrust23THRUST_200600_302600_NS17counting_iteratorIiNSB_11use_defaultESD_SD_EEPNS0_10empty_typeENS0_5tupleIJPiSF_EEENSH_IJSI_SG_EEENS0_18inequality_wrapperIN6hipcub16HIPCUB_304000_NS8EqualityEEEPlJSF_EEE10hipError_tPvRmT3_T4_T5_T6_T7_T9_mT8_P12ihipStream_tbDpT10_ENKUlT_T0_E_clISt17integral_constantIbLb0EES19_IbLb1EEEEDaS15_S16_EUlS15_E_NS1_11comp_targetILNS1_3genE3ELNS1_11target_archE908ELNS1_3gpuE7ELNS1_3repE0EEENS1_30default_config_static_selectorELNS0_4arch9wavefront6targetE1EEEvT1_
		.amdhsa_group_segment_fixed_size 0
		.amdhsa_private_segment_fixed_size 0
		.amdhsa_kernarg_size 128
		.amdhsa_user_sgpr_count 2
		.amdhsa_user_sgpr_dispatch_ptr 0
		.amdhsa_user_sgpr_queue_ptr 0
		.amdhsa_user_sgpr_kernarg_segment_ptr 1
		.amdhsa_user_sgpr_dispatch_id 0
		.amdhsa_user_sgpr_kernarg_preload_length 0
		.amdhsa_user_sgpr_kernarg_preload_offset 0
		.amdhsa_user_sgpr_private_segment_size 0
		.amdhsa_uses_dynamic_stack 0
		.amdhsa_enable_private_segment 0
		.amdhsa_system_sgpr_workgroup_id_x 1
		.amdhsa_system_sgpr_workgroup_id_y 0
		.amdhsa_system_sgpr_workgroup_id_z 0
		.amdhsa_system_sgpr_workgroup_info 0
		.amdhsa_system_vgpr_workitem_id 0
		.amdhsa_next_free_vgpr 1
		.amdhsa_next_free_sgpr 0
		.amdhsa_accum_offset 4
		.amdhsa_reserve_vcc 0
		.amdhsa_float_round_mode_32 0
		.amdhsa_float_round_mode_16_64 0
		.amdhsa_float_denorm_mode_32 3
		.amdhsa_float_denorm_mode_16_64 3
		.amdhsa_dx10_clamp 1
		.amdhsa_ieee_mode 1
		.amdhsa_fp16_overflow 0
		.amdhsa_tg_split 0
		.amdhsa_exception_fp_ieee_invalid_op 0
		.amdhsa_exception_fp_denorm_src 0
		.amdhsa_exception_fp_ieee_div_zero 0
		.amdhsa_exception_fp_ieee_overflow 0
		.amdhsa_exception_fp_ieee_underflow 0
		.amdhsa_exception_fp_ieee_inexact 0
		.amdhsa_exception_int_div_zero 0
	.end_amdhsa_kernel
	.section	.text._ZN7rocprim17ROCPRIM_400000_NS6detail17trampoline_kernelINS0_14default_configENS1_25partition_config_selectorILNS1_17partition_subalgoE9EiibEEZZNS1_14partition_implILS5_9ELb0ES3_jPKiN6thrust23THRUST_200600_302600_NS17counting_iteratorIiNSB_11use_defaultESD_SD_EEPNS0_10empty_typeENS0_5tupleIJPiSF_EEENSH_IJSI_SG_EEENS0_18inequality_wrapperIN6hipcub16HIPCUB_304000_NS8EqualityEEEPlJSF_EEE10hipError_tPvRmT3_T4_T5_T6_T7_T9_mT8_P12ihipStream_tbDpT10_ENKUlT_T0_E_clISt17integral_constantIbLb0EES19_IbLb1EEEEDaS15_S16_EUlS15_E_NS1_11comp_targetILNS1_3genE3ELNS1_11target_archE908ELNS1_3gpuE7ELNS1_3repE0EEENS1_30default_config_static_selectorELNS0_4arch9wavefront6targetE1EEEvT1_,"axG",@progbits,_ZN7rocprim17ROCPRIM_400000_NS6detail17trampoline_kernelINS0_14default_configENS1_25partition_config_selectorILNS1_17partition_subalgoE9EiibEEZZNS1_14partition_implILS5_9ELb0ES3_jPKiN6thrust23THRUST_200600_302600_NS17counting_iteratorIiNSB_11use_defaultESD_SD_EEPNS0_10empty_typeENS0_5tupleIJPiSF_EEENSH_IJSI_SG_EEENS0_18inequality_wrapperIN6hipcub16HIPCUB_304000_NS8EqualityEEEPlJSF_EEE10hipError_tPvRmT3_T4_T5_T6_T7_T9_mT8_P12ihipStream_tbDpT10_ENKUlT_T0_E_clISt17integral_constantIbLb0EES19_IbLb1EEEEDaS15_S16_EUlS15_E_NS1_11comp_targetILNS1_3genE3ELNS1_11target_archE908ELNS1_3gpuE7ELNS1_3repE0EEENS1_30default_config_static_selectorELNS0_4arch9wavefront6targetE1EEEvT1_,comdat
.Lfunc_end39:
	.size	_ZN7rocprim17ROCPRIM_400000_NS6detail17trampoline_kernelINS0_14default_configENS1_25partition_config_selectorILNS1_17partition_subalgoE9EiibEEZZNS1_14partition_implILS5_9ELb0ES3_jPKiN6thrust23THRUST_200600_302600_NS17counting_iteratorIiNSB_11use_defaultESD_SD_EEPNS0_10empty_typeENS0_5tupleIJPiSF_EEENSH_IJSI_SG_EEENS0_18inequality_wrapperIN6hipcub16HIPCUB_304000_NS8EqualityEEEPlJSF_EEE10hipError_tPvRmT3_T4_T5_T6_T7_T9_mT8_P12ihipStream_tbDpT10_ENKUlT_T0_E_clISt17integral_constantIbLb0EES19_IbLb1EEEEDaS15_S16_EUlS15_E_NS1_11comp_targetILNS1_3genE3ELNS1_11target_archE908ELNS1_3gpuE7ELNS1_3repE0EEENS1_30default_config_static_selectorELNS0_4arch9wavefront6targetE1EEEvT1_, .Lfunc_end39-_ZN7rocprim17ROCPRIM_400000_NS6detail17trampoline_kernelINS0_14default_configENS1_25partition_config_selectorILNS1_17partition_subalgoE9EiibEEZZNS1_14partition_implILS5_9ELb0ES3_jPKiN6thrust23THRUST_200600_302600_NS17counting_iteratorIiNSB_11use_defaultESD_SD_EEPNS0_10empty_typeENS0_5tupleIJPiSF_EEENSH_IJSI_SG_EEENS0_18inequality_wrapperIN6hipcub16HIPCUB_304000_NS8EqualityEEEPlJSF_EEE10hipError_tPvRmT3_T4_T5_T6_T7_T9_mT8_P12ihipStream_tbDpT10_ENKUlT_T0_E_clISt17integral_constantIbLb0EES19_IbLb1EEEEDaS15_S16_EUlS15_E_NS1_11comp_targetILNS1_3genE3ELNS1_11target_archE908ELNS1_3gpuE7ELNS1_3repE0EEENS1_30default_config_static_selectorELNS0_4arch9wavefront6targetE1EEEvT1_
                                        ; -- End function
	.section	.AMDGPU.csdata,"",@progbits
; Kernel info:
; codeLenInByte = 0
; NumSgprs: 6
; NumVgprs: 0
; NumAgprs: 0
; TotalNumVgprs: 0
; ScratchSize: 0
; MemoryBound: 0
; FloatMode: 240
; IeeeMode: 1
; LDSByteSize: 0 bytes/workgroup (compile time only)
; SGPRBlocks: 0
; VGPRBlocks: 0
; NumSGPRsForWavesPerEU: 6
; NumVGPRsForWavesPerEU: 1
; AccumOffset: 4
; Occupancy: 8
; WaveLimiterHint : 0
; COMPUTE_PGM_RSRC2:SCRATCH_EN: 0
; COMPUTE_PGM_RSRC2:USER_SGPR: 2
; COMPUTE_PGM_RSRC2:TRAP_HANDLER: 0
; COMPUTE_PGM_RSRC2:TGID_X_EN: 1
; COMPUTE_PGM_RSRC2:TGID_Y_EN: 0
; COMPUTE_PGM_RSRC2:TGID_Z_EN: 0
; COMPUTE_PGM_RSRC2:TIDIG_COMP_CNT: 0
; COMPUTE_PGM_RSRC3_GFX90A:ACCUM_OFFSET: 0
; COMPUTE_PGM_RSRC3_GFX90A:TG_SPLIT: 0
	.section	.text._ZN7rocprim17ROCPRIM_400000_NS6detail17trampoline_kernelINS0_14default_configENS1_25partition_config_selectorILNS1_17partition_subalgoE9EiibEEZZNS1_14partition_implILS5_9ELb0ES3_jPKiN6thrust23THRUST_200600_302600_NS17counting_iteratorIiNSB_11use_defaultESD_SD_EEPNS0_10empty_typeENS0_5tupleIJPiSF_EEENSH_IJSI_SG_EEENS0_18inequality_wrapperIN6hipcub16HIPCUB_304000_NS8EqualityEEEPlJSF_EEE10hipError_tPvRmT3_T4_T5_T6_T7_T9_mT8_P12ihipStream_tbDpT10_ENKUlT_T0_E_clISt17integral_constantIbLb0EES19_IbLb1EEEEDaS15_S16_EUlS15_E_NS1_11comp_targetILNS1_3genE2ELNS1_11target_archE906ELNS1_3gpuE6ELNS1_3repE0EEENS1_30default_config_static_selectorELNS0_4arch9wavefront6targetE1EEEvT1_,"axG",@progbits,_ZN7rocprim17ROCPRIM_400000_NS6detail17trampoline_kernelINS0_14default_configENS1_25partition_config_selectorILNS1_17partition_subalgoE9EiibEEZZNS1_14partition_implILS5_9ELb0ES3_jPKiN6thrust23THRUST_200600_302600_NS17counting_iteratorIiNSB_11use_defaultESD_SD_EEPNS0_10empty_typeENS0_5tupleIJPiSF_EEENSH_IJSI_SG_EEENS0_18inequality_wrapperIN6hipcub16HIPCUB_304000_NS8EqualityEEEPlJSF_EEE10hipError_tPvRmT3_T4_T5_T6_T7_T9_mT8_P12ihipStream_tbDpT10_ENKUlT_T0_E_clISt17integral_constantIbLb0EES19_IbLb1EEEEDaS15_S16_EUlS15_E_NS1_11comp_targetILNS1_3genE2ELNS1_11target_archE906ELNS1_3gpuE6ELNS1_3repE0EEENS1_30default_config_static_selectorELNS0_4arch9wavefront6targetE1EEEvT1_,comdat
	.protected	_ZN7rocprim17ROCPRIM_400000_NS6detail17trampoline_kernelINS0_14default_configENS1_25partition_config_selectorILNS1_17partition_subalgoE9EiibEEZZNS1_14partition_implILS5_9ELb0ES3_jPKiN6thrust23THRUST_200600_302600_NS17counting_iteratorIiNSB_11use_defaultESD_SD_EEPNS0_10empty_typeENS0_5tupleIJPiSF_EEENSH_IJSI_SG_EEENS0_18inequality_wrapperIN6hipcub16HIPCUB_304000_NS8EqualityEEEPlJSF_EEE10hipError_tPvRmT3_T4_T5_T6_T7_T9_mT8_P12ihipStream_tbDpT10_ENKUlT_T0_E_clISt17integral_constantIbLb0EES19_IbLb1EEEEDaS15_S16_EUlS15_E_NS1_11comp_targetILNS1_3genE2ELNS1_11target_archE906ELNS1_3gpuE6ELNS1_3repE0EEENS1_30default_config_static_selectorELNS0_4arch9wavefront6targetE1EEEvT1_ ; -- Begin function _ZN7rocprim17ROCPRIM_400000_NS6detail17trampoline_kernelINS0_14default_configENS1_25partition_config_selectorILNS1_17partition_subalgoE9EiibEEZZNS1_14partition_implILS5_9ELb0ES3_jPKiN6thrust23THRUST_200600_302600_NS17counting_iteratorIiNSB_11use_defaultESD_SD_EEPNS0_10empty_typeENS0_5tupleIJPiSF_EEENSH_IJSI_SG_EEENS0_18inequality_wrapperIN6hipcub16HIPCUB_304000_NS8EqualityEEEPlJSF_EEE10hipError_tPvRmT3_T4_T5_T6_T7_T9_mT8_P12ihipStream_tbDpT10_ENKUlT_T0_E_clISt17integral_constantIbLb0EES19_IbLb1EEEEDaS15_S16_EUlS15_E_NS1_11comp_targetILNS1_3genE2ELNS1_11target_archE906ELNS1_3gpuE6ELNS1_3repE0EEENS1_30default_config_static_selectorELNS0_4arch9wavefront6targetE1EEEvT1_
	.globl	_ZN7rocprim17ROCPRIM_400000_NS6detail17trampoline_kernelINS0_14default_configENS1_25partition_config_selectorILNS1_17partition_subalgoE9EiibEEZZNS1_14partition_implILS5_9ELb0ES3_jPKiN6thrust23THRUST_200600_302600_NS17counting_iteratorIiNSB_11use_defaultESD_SD_EEPNS0_10empty_typeENS0_5tupleIJPiSF_EEENSH_IJSI_SG_EEENS0_18inequality_wrapperIN6hipcub16HIPCUB_304000_NS8EqualityEEEPlJSF_EEE10hipError_tPvRmT3_T4_T5_T6_T7_T9_mT8_P12ihipStream_tbDpT10_ENKUlT_T0_E_clISt17integral_constantIbLb0EES19_IbLb1EEEEDaS15_S16_EUlS15_E_NS1_11comp_targetILNS1_3genE2ELNS1_11target_archE906ELNS1_3gpuE6ELNS1_3repE0EEENS1_30default_config_static_selectorELNS0_4arch9wavefront6targetE1EEEvT1_
	.p2align	8
	.type	_ZN7rocprim17ROCPRIM_400000_NS6detail17trampoline_kernelINS0_14default_configENS1_25partition_config_selectorILNS1_17partition_subalgoE9EiibEEZZNS1_14partition_implILS5_9ELb0ES3_jPKiN6thrust23THRUST_200600_302600_NS17counting_iteratorIiNSB_11use_defaultESD_SD_EEPNS0_10empty_typeENS0_5tupleIJPiSF_EEENSH_IJSI_SG_EEENS0_18inequality_wrapperIN6hipcub16HIPCUB_304000_NS8EqualityEEEPlJSF_EEE10hipError_tPvRmT3_T4_T5_T6_T7_T9_mT8_P12ihipStream_tbDpT10_ENKUlT_T0_E_clISt17integral_constantIbLb0EES19_IbLb1EEEEDaS15_S16_EUlS15_E_NS1_11comp_targetILNS1_3genE2ELNS1_11target_archE906ELNS1_3gpuE6ELNS1_3repE0EEENS1_30default_config_static_selectorELNS0_4arch9wavefront6targetE1EEEvT1_,@function
_ZN7rocprim17ROCPRIM_400000_NS6detail17trampoline_kernelINS0_14default_configENS1_25partition_config_selectorILNS1_17partition_subalgoE9EiibEEZZNS1_14partition_implILS5_9ELb0ES3_jPKiN6thrust23THRUST_200600_302600_NS17counting_iteratorIiNSB_11use_defaultESD_SD_EEPNS0_10empty_typeENS0_5tupleIJPiSF_EEENSH_IJSI_SG_EEENS0_18inequality_wrapperIN6hipcub16HIPCUB_304000_NS8EqualityEEEPlJSF_EEE10hipError_tPvRmT3_T4_T5_T6_T7_T9_mT8_P12ihipStream_tbDpT10_ENKUlT_T0_E_clISt17integral_constantIbLb0EES19_IbLb1EEEEDaS15_S16_EUlS15_E_NS1_11comp_targetILNS1_3genE2ELNS1_11target_archE906ELNS1_3gpuE6ELNS1_3repE0EEENS1_30default_config_static_selectorELNS0_4arch9wavefront6targetE1EEEvT1_: ; @_ZN7rocprim17ROCPRIM_400000_NS6detail17trampoline_kernelINS0_14default_configENS1_25partition_config_selectorILNS1_17partition_subalgoE9EiibEEZZNS1_14partition_implILS5_9ELb0ES3_jPKiN6thrust23THRUST_200600_302600_NS17counting_iteratorIiNSB_11use_defaultESD_SD_EEPNS0_10empty_typeENS0_5tupleIJPiSF_EEENSH_IJSI_SG_EEENS0_18inequality_wrapperIN6hipcub16HIPCUB_304000_NS8EqualityEEEPlJSF_EEE10hipError_tPvRmT3_T4_T5_T6_T7_T9_mT8_P12ihipStream_tbDpT10_ENKUlT_T0_E_clISt17integral_constantIbLb0EES19_IbLb1EEEEDaS15_S16_EUlS15_E_NS1_11comp_targetILNS1_3genE2ELNS1_11target_archE906ELNS1_3gpuE6ELNS1_3repE0EEENS1_30default_config_static_selectorELNS0_4arch9wavefront6targetE1EEEvT1_
; %bb.0:
	.section	.rodata,"a",@progbits
	.p2align	6, 0x0
	.amdhsa_kernel _ZN7rocprim17ROCPRIM_400000_NS6detail17trampoline_kernelINS0_14default_configENS1_25partition_config_selectorILNS1_17partition_subalgoE9EiibEEZZNS1_14partition_implILS5_9ELb0ES3_jPKiN6thrust23THRUST_200600_302600_NS17counting_iteratorIiNSB_11use_defaultESD_SD_EEPNS0_10empty_typeENS0_5tupleIJPiSF_EEENSH_IJSI_SG_EEENS0_18inequality_wrapperIN6hipcub16HIPCUB_304000_NS8EqualityEEEPlJSF_EEE10hipError_tPvRmT3_T4_T5_T6_T7_T9_mT8_P12ihipStream_tbDpT10_ENKUlT_T0_E_clISt17integral_constantIbLb0EES19_IbLb1EEEEDaS15_S16_EUlS15_E_NS1_11comp_targetILNS1_3genE2ELNS1_11target_archE906ELNS1_3gpuE6ELNS1_3repE0EEENS1_30default_config_static_selectorELNS0_4arch9wavefront6targetE1EEEvT1_
		.amdhsa_group_segment_fixed_size 0
		.amdhsa_private_segment_fixed_size 0
		.amdhsa_kernarg_size 128
		.amdhsa_user_sgpr_count 2
		.amdhsa_user_sgpr_dispatch_ptr 0
		.amdhsa_user_sgpr_queue_ptr 0
		.amdhsa_user_sgpr_kernarg_segment_ptr 1
		.amdhsa_user_sgpr_dispatch_id 0
		.amdhsa_user_sgpr_kernarg_preload_length 0
		.amdhsa_user_sgpr_kernarg_preload_offset 0
		.amdhsa_user_sgpr_private_segment_size 0
		.amdhsa_uses_dynamic_stack 0
		.amdhsa_enable_private_segment 0
		.amdhsa_system_sgpr_workgroup_id_x 1
		.amdhsa_system_sgpr_workgroup_id_y 0
		.amdhsa_system_sgpr_workgroup_id_z 0
		.amdhsa_system_sgpr_workgroup_info 0
		.amdhsa_system_vgpr_workitem_id 0
		.amdhsa_next_free_vgpr 1
		.amdhsa_next_free_sgpr 0
		.amdhsa_accum_offset 4
		.amdhsa_reserve_vcc 0
		.amdhsa_float_round_mode_32 0
		.amdhsa_float_round_mode_16_64 0
		.amdhsa_float_denorm_mode_32 3
		.amdhsa_float_denorm_mode_16_64 3
		.amdhsa_dx10_clamp 1
		.amdhsa_ieee_mode 1
		.amdhsa_fp16_overflow 0
		.amdhsa_tg_split 0
		.amdhsa_exception_fp_ieee_invalid_op 0
		.amdhsa_exception_fp_denorm_src 0
		.amdhsa_exception_fp_ieee_div_zero 0
		.amdhsa_exception_fp_ieee_overflow 0
		.amdhsa_exception_fp_ieee_underflow 0
		.amdhsa_exception_fp_ieee_inexact 0
		.amdhsa_exception_int_div_zero 0
	.end_amdhsa_kernel
	.section	.text._ZN7rocprim17ROCPRIM_400000_NS6detail17trampoline_kernelINS0_14default_configENS1_25partition_config_selectorILNS1_17partition_subalgoE9EiibEEZZNS1_14partition_implILS5_9ELb0ES3_jPKiN6thrust23THRUST_200600_302600_NS17counting_iteratorIiNSB_11use_defaultESD_SD_EEPNS0_10empty_typeENS0_5tupleIJPiSF_EEENSH_IJSI_SG_EEENS0_18inequality_wrapperIN6hipcub16HIPCUB_304000_NS8EqualityEEEPlJSF_EEE10hipError_tPvRmT3_T4_T5_T6_T7_T9_mT8_P12ihipStream_tbDpT10_ENKUlT_T0_E_clISt17integral_constantIbLb0EES19_IbLb1EEEEDaS15_S16_EUlS15_E_NS1_11comp_targetILNS1_3genE2ELNS1_11target_archE906ELNS1_3gpuE6ELNS1_3repE0EEENS1_30default_config_static_selectorELNS0_4arch9wavefront6targetE1EEEvT1_,"axG",@progbits,_ZN7rocprim17ROCPRIM_400000_NS6detail17trampoline_kernelINS0_14default_configENS1_25partition_config_selectorILNS1_17partition_subalgoE9EiibEEZZNS1_14partition_implILS5_9ELb0ES3_jPKiN6thrust23THRUST_200600_302600_NS17counting_iteratorIiNSB_11use_defaultESD_SD_EEPNS0_10empty_typeENS0_5tupleIJPiSF_EEENSH_IJSI_SG_EEENS0_18inequality_wrapperIN6hipcub16HIPCUB_304000_NS8EqualityEEEPlJSF_EEE10hipError_tPvRmT3_T4_T5_T6_T7_T9_mT8_P12ihipStream_tbDpT10_ENKUlT_T0_E_clISt17integral_constantIbLb0EES19_IbLb1EEEEDaS15_S16_EUlS15_E_NS1_11comp_targetILNS1_3genE2ELNS1_11target_archE906ELNS1_3gpuE6ELNS1_3repE0EEENS1_30default_config_static_selectorELNS0_4arch9wavefront6targetE1EEEvT1_,comdat
.Lfunc_end40:
	.size	_ZN7rocprim17ROCPRIM_400000_NS6detail17trampoline_kernelINS0_14default_configENS1_25partition_config_selectorILNS1_17partition_subalgoE9EiibEEZZNS1_14partition_implILS5_9ELb0ES3_jPKiN6thrust23THRUST_200600_302600_NS17counting_iteratorIiNSB_11use_defaultESD_SD_EEPNS0_10empty_typeENS0_5tupleIJPiSF_EEENSH_IJSI_SG_EEENS0_18inequality_wrapperIN6hipcub16HIPCUB_304000_NS8EqualityEEEPlJSF_EEE10hipError_tPvRmT3_T4_T5_T6_T7_T9_mT8_P12ihipStream_tbDpT10_ENKUlT_T0_E_clISt17integral_constantIbLb0EES19_IbLb1EEEEDaS15_S16_EUlS15_E_NS1_11comp_targetILNS1_3genE2ELNS1_11target_archE906ELNS1_3gpuE6ELNS1_3repE0EEENS1_30default_config_static_selectorELNS0_4arch9wavefront6targetE1EEEvT1_, .Lfunc_end40-_ZN7rocprim17ROCPRIM_400000_NS6detail17trampoline_kernelINS0_14default_configENS1_25partition_config_selectorILNS1_17partition_subalgoE9EiibEEZZNS1_14partition_implILS5_9ELb0ES3_jPKiN6thrust23THRUST_200600_302600_NS17counting_iteratorIiNSB_11use_defaultESD_SD_EEPNS0_10empty_typeENS0_5tupleIJPiSF_EEENSH_IJSI_SG_EEENS0_18inequality_wrapperIN6hipcub16HIPCUB_304000_NS8EqualityEEEPlJSF_EEE10hipError_tPvRmT3_T4_T5_T6_T7_T9_mT8_P12ihipStream_tbDpT10_ENKUlT_T0_E_clISt17integral_constantIbLb0EES19_IbLb1EEEEDaS15_S16_EUlS15_E_NS1_11comp_targetILNS1_3genE2ELNS1_11target_archE906ELNS1_3gpuE6ELNS1_3repE0EEENS1_30default_config_static_selectorELNS0_4arch9wavefront6targetE1EEEvT1_
                                        ; -- End function
	.section	.AMDGPU.csdata,"",@progbits
; Kernel info:
; codeLenInByte = 0
; NumSgprs: 6
; NumVgprs: 0
; NumAgprs: 0
; TotalNumVgprs: 0
; ScratchSize: 0
; MemoryBound: 0
; FloatMode: 240
; IeeeMode: 1
; LDSByteSize: 0 bytes/workgroup (compile time only)
; SGPRBlocks: 0
; VGPRBlocks: 0
; NumSGPRsForWavesPerEU: 6
; NumVGPRsForWavesPerEU: 1
; AccumOffset: 4
; Occupancy: 8
; WaveLimiterHint : 0
; COMPUTE_PGM_RSRC2:SCRATCH_EN: 0
; COMPUTE_PGM_RSRC2:USER_SGPR: 2
; COMPUTE_PGM_RSRC2:TRAP_HANDLER: 0
; COMPUTE_PGM_RSRC2:TGID_X_EN: 1
; COMPUTE_PGM_RSRC2:TGID_Y_EN: 0
; COMPUTE_PGM_RSRC2:TGID_Z_EN: 0
; COMPUTE_PGM_RSRC2:TIDIG_COMP_CNT: 0
; COMPUTE_PGM_RSRC3_GFX90A:ACCUM_OFFSET: 0
; COMPUTE_PGM_RSRC3_GFX90A:TG_SPLIT: 0
	.section	.text._ZN7rocprim17ROCPRIM_400000_NS6detail17trampoline_kernelINS0_14default_configENS1_25partition_config_selectorILNS1_17partition_subalgoE9EiibEEZZNS1_14partition_implILS5_9ELb0ES3_jPKiN6thrust23THRUST_200600_302600_NS17counting_iteratorIiNSB_11use_defaultESD_SD_EEPNS0_10empty_typeENS0_5tupleIJPiSF_EEENSH_IJSI_SG_EEENS0_18inequality_wrapperIN6hipcub16HIPCUB_304000_NS8EqualityEEEPlJSF_EEE10hipError_tPvRmT3_T4_T5_T6_T7_T9_mT8_P12ihipStream_tbDpT10_ENKUlT_T0_E_clISt17integral_constantIbLb0EES19_IbLb1EEEEDaS15_S16_EUlS15_E_NS1_11comp_targetILNS1_3genE10ELNS1_11target_archE1200ELNS1_3gpuE4ELNS1_3repE0EEENS1_30default_config_static_selectorELNS0_4arch9wavefront6targetE1EEEvT1_,"axG",@progbits,_ZN7rocprim17ROCPRIM_400000_NS6detail17trampoline_kernelINS0_14default_configENS1_25partition_config_selectorILNS1_17partition_subalgoE9EiibEEZZNS1_14partition_implILS5_9ELb0ES3_jPKiN6thrust23THRUST_200600_302600_NS17counting_iteratorIiNSB_11use_defaultESD_SD_EEPNS0_10empty_typeENS0_5tupleIJPiSF_EEENSH_IJSI_SG_EEENS0_18inequality_wrapperIN6hipcub16HIPCUB_304000_NS8EqualityEEEPlJSF_EEE10hipError_tPvRmT3_T4_T5_T6_T7_T9_mT8_P12ihipStream_tbDpT10_ENKUlT_T0_E_clISt17integral_constantIbLb0EES19_IbLb1EEEEDaS15_S16_EUlS15_E_NS1_11comp_targetILNS1_3genE10ELNS1_11target_archE1200ELNS1_3gpuE4ELNS1_3repE0EEENS1_30default_config_static_selectorELNS0_4arch9wavefront6targetE1EEEvT1_,comdat
	.protected	_ZN7rocprim17ROCPRIM_400000_NS6detail17trampoline_kernelINS0_14default_configENS1_25partition_config_selectorILNS1_17partition_subalgoE9EiibEEZZNS1_14partition_implILS5_9ELb0ES3_jPKiN6thrust23THRUST_200600_302600_NS17counting_iteratorIiNSB_11use_defaultESD_SD_EEPNS0_10empty_typeENS0_5tupleIJPiSF_EEENSH_IJSI_SG_EEENS0_18inequality_wrapperIN6hipcub16HIPCUB_304000_NS8EqualityEEEPlJSF_EEE10hipError_tPvRmT3_T4_T5_T6_T7_T9_mT8_P12ihipStream_tbDpT10_ENKUlT_T0_E_clISt17integral_constantIbLb0EES19_IbLb1EEEEDaS15_S16_EUlS15_E_NS1_11comp_targetILNS1_3genE10ELNS1_11target_archE1200ELNS1_3gpuE4ELNS1_3repE0EEENS1_30default_config_static_selectorELNS0_4arch9wavefront6targetE1EEEvT1_ ; -- Begin function _ZN7rocprim17ROCPRIM_400000_NS6detail17trampoline_kernelINS0_14default_configENS1_25partition_config_selectorILNS1_17partition_subalgoE9EiibEEZZNS1_14partition_implILS5_9ELb0ES3_jPKiN6thrust23THRUST_200600_302600_NS17counting_iteratorIiNSB_11use_defaultESD_SD_EEPNS0_10empty_typeENS0_5tupleIJPiSF_EEENSH_IJSI_SG_EEENS0_18inequality_wrapperIN6hipcub16HIPCUB_304000_NS8EqualityEEEPlJSF_EEE10hipError_tPvRmT3_T4_T5_T6_T7_T9_mT8_P12ihipStream_tbDpT10_ENKUlT_T0_E_clISt17integral_constantIbLb0EES19_IbLb1EEEEDaS15_S16_EUlS15_E_NS1_11comp_targetILNS1_3genE10ELNS1_11target_archE1200ELNS1_3gpuE4ELNS1_3repE0EEENS1_30default_config_static_selectorELNS0_4arch9wavefront6targetE1EEEvT1_
	.globl	_ZN7rocprim17ROCPRIM_400000_NS6detail17trampoline_kernelINS0_14default_configENS1_25partition_config_selectorILNS1_17partition_subalgoE9EiibEEZZNS1_14partition_implILS5_9ELb0ES3_jPKiN6thrust23THRUST_200600_302600_NS17counting_iteratorIiNSB_11use_defaultESD_SD_EEPNS0_10empty_typeENS0_5tupleIJPiSF_EEENSH_IJSI_SG_EEENS0_18inequality_wrapperIN6hipcub16HIPCUB_304000_NS8EqualityEEEPlJSF_EEE10hipError_tPvRmT3_T4_T5_T6_T7_T9_mT8_P12ihipStream_tbDpT10_ENKUlT_T0_E_clISt17integral_constantIbLb0EES19_IbLb1EEEEDaS15_S16_EUlS15_E_NS1_11comp_targetILNS1_3genE10ELNS1_11target_archE1200ELNS1_3gpuE4ELNS1_3repE0EEENS1_30default_config_static_selectorELNS0_4arch9wavefront6targetE1EEEvT1_
	.p2align	8
	.type	_ZN7rocprim17ROCPRIM_400000_NS6detail17trampoline_kernelINS0_14default_configENS1_25partition_config_selectorILNS1_17partition_subalgoE9EiibEEZZNS1_14partition_implILS5_9ELb0ES3_jPKiN6thrust23THRUST_200600_302600_NS17counting_iteratorIiNSB_11use_defaultESD_SD_EEPNS0_10empty_typeENS0_5tupleIJPiSF_EEENSH_IJSI_SG_EEENS0_18inequality_wrapperIN6hipcub16HIPCUB_304000_NS8EqualityEEEPlJSF_EEE10hipError_tPvRmT3_T4_T5_T6_T7_T9_mT8_P12ihipStream_tbDpT10_ENKUlT_T0_E_clISt17integral_constantIbLb0EES19_IbLb1EEEEDaS15_S16_EUlS15_E_NS1_11comp_targetILNS1_3genE10ELNS1_11target_archE1200ELNS1_3gpuE4ELNS1_3repE0EEENS1_30default_config_static_selectorELNS0_4arch9wavefront6targetE1EEEvT1_,@function
_ZN7rocprim17ROCPRIM_400000_NS6detail17trampoline_kernelINS0_14default_configENS1_25partition_config_selectorILNS1_17partition_subalgoE9EiibEEZZNS1_14partition_implILS5_9ELb0ES3_jPKiN6thrust23THRUST_200600_302600_NS17counting_iteratorIiNSB_11use_defaultESD_SD_EEPNS0_10empty_typeENS0_5tupleIJPiSF_EEENSH_IJSI_SG_EEENS0_18inequality_wrapperIN6hipcub16HIPCUB_304000_NS8EqualityEEEPlJSF_EEE10hipError_tPvRmT3_T4_T5_T6_T7_T9_mT8_P12ihipStream_tbDpT10_ENKUlT_T0_E_clISt17integral_constantIbLb0EES19_IbLb1EEEEDaS15_S16_EUlS15_E_NS1_11comp_targetILNS1_3genE10ELNS1_11target_archE1200ELNS1_3gpuE4ELNS1_3repE0EEENS1_30default_config_static_selectorELNS0_4arch9wavefront6targetE1EEEvT1_: ; @_ZN7rocprim17ROCPRIM_400000_NS6detail17trampoline_kernelINS0_14default_configENS1_25partition_config_selectorILNS1_17partition_subalgoE9EiibEEZZNS1_14partition_implILS5_9ELb0ES3_jPKiN6thrust23THRUST_200600_302600_NS17counting_iteratorIiNSB_11use_defaultESD_SD_EEPNS0_10empty_typeENS0_5tupleIJPiSF_EEENSH_IJSI_SG_EEENS0_18inequality_wrapperIN6hipcub16HIPCUB_304000_NS8EqualityEEEPlJSF_EEE10hipError_tPvRmT3_T4_T5_T6_T7_T9_mT8_P12ihipStream_tbDpT10_ENKUlT_T0_E_clISt17integral_constantIbLb0EES19_IbLb1EEEEDaS15_S16_EUlS15_E_NS1_11comp_targetILNS1_3genE10ELNS1_11target_archE1200ELNS1_3gpuE4ELNS1_3repE0EEENS1_30default_config_static_selectorELNS0_4arch9wavefront6targetE1EEEvT1_
; %bb.0:
	.section	.rodata,"a",@progbits
	.p2align	6, 0x0
	.amdhsa_kernel _ZN7rocprim17ROCPRIM_400000_NS6detail17trampoline_kernelINS0_14default_configENS1_25partition_config_selectorILNS1_17partition_subalgoE9EiibEEZZNS1_14partition_implILS5_9ELb0ES3_jPKiN6thrust23THRUST_200600_302600_NS17counting_iteratorIiNSB_11use_defaultESD_SD_EEPNS0_10empty_typeENS0_5tupleIJPiSF_EEENSH_IJSI_SG_EEENS0_18inequality_wrapperIN6hipcub16HIPCUB_304000_NS8EqualityEEEPlJSF_EEE10hipError_tPvRmT3_T4_T5_T6_T7_T9_mT8_P12ihipStream_tbDpT10_ENKUlT_T0_E_clISt17integral_constantIbLb0EES19_IbLb1EEEEDaS15_S16_EUlS15_E_NS1_11comp_targetILNS1_3genE10ELNS1_11target_archE1200ELNS1_3gpuE4ELNS1_3repE0EEENS1_30default_config_static_selectorELNS0_4arch9wavefront6targetE1EEEvT1_
		.amdhsa_group_segment_fixed_size 0
		.amdhsa_private_segment_fixed_size 0
		.amdhsa_kernarg_size 128
		.amdhsa_user_sgpr_count 2
		.amdhsa_user_sgpr_dispatch_ptr 0
		.amdhsa_user_sgpr_queue_ptr 0
		.amdhsa_user_sgpr_kernarg_segment_ptr 1
		.amdhsa_user_sgpr_dispatch_id 0
		.amdhsa_user_sgpr_kernarg_preload_length 0
		.amdhsa_user_sgpr_kernarg_preload_offset 0
		.amdhsa_user_sgpr_private_segment_size 0
		.amdhsa_uses_dynamic_stack 0
		.amdhsa_enable_private_segment 0
		.amdhsa_system_sgpr_workgroup_id_x 1
		.amdhsa_system_sgpr_workgroup_id_y 0
		.amdhsa_system_sgpr_workgroup_id_z 0
		.amdhsa_system_sgpr_workgroup_info 0
		.amdhsa_system_vgpr_workitem_id 0
		.amdhsa_next_free_vgpr 1
		.amdhsa_next_free_sgpr 0
		.amdhsa_accum_offset 4
		.amdhsa_reserve_vcc 0
		.amdhsa_float_round_mode_32 0
		.amdhsa_float_round_mode_16_64 0
		.amdhsa_float_denorm_mode_32 3
		.amdhsa_float_denorm_mode_16_64 3
		.amdhsa_dx10_clamp 1
		.amdhsa_ieee_mode 1
		.amdhsa_fp16_overflow 0
		.amdhsa_tg_split 0
		.amdhsa_exception_fp_ieee_invalid_op 0
		.amdhsa_exception_fp_denorm_src 0
		.amdhsa_exception_fp_ieee_div_zero 0
		.amdhsa_exception_fp_ieee_overflow 0
		.amdhsa_exception_fp_ieee_underflow 0
		.amdhsa_exception_fp_ieee_inexact 0
		.amdhsa_exception_int_div_zero 0
	.end_amdhsa_kernel
	.section	.text._ZN7rocprim17ROCPRIM_400000_NS6detail17trampoline_kernelINS0_14default_configENS1_25partition_config_selectorILNS1_17partition_subalgoE9EiibEEZZNS1_14partition_implILS5_9ELb0ES3_jPKiN6thrust23THRUST_200600_302600_NS17counting_iteratorIiNSB_11use_defaultESD_SD_EEPNS0_10empty_typeENS0_5tupleIJPiSF_EEENSH_IJSI_SG_EEENS0_18inequality_wrapperIN6hipcub16HIPCUB_304000_NS8EqualityEEEPlJSF_EEE10hipError_tPvRmT3_T4_T5_T6_T7_T9_mT8_P12ihipStream_tbDpT10_ENKUlT_T0_E_clISt17integral_constantIbLb0EES19_IbLb1EEEEDaS15_S16_EUlS15_E_NS1_11comp_targetILNS1_3genE10ELNS1_11target_archE1200ELNS1_3gpuE4ELNS1_3repE0EEENS1_30default_config_static_selectorELNS0_4arch9wavefront6targetE1EEEvT1_,"axG",@progbits,_ZN7rocprim17ROCPRIM_400000_NS6detail17trampoline_kernelINS0_14default_configENS1_25partition_config_selectorILNS1_17partition_subalgoE9EiibEEZZNS1_14partition_implILS5_9ELb0ES3_jPKiN6thrust23THRUST_200600_302600_NS17counting_iteratorIiNSB_11use_defaultESD_SD_EEPNS0_10empty_typeENS0_5tupleIJPiSF_EEENSH_IJSI_SG_EEENS0_18inequality_wrapperIN6hipcub16HIPCUB_304000_NS8EqualityEEEPlJSF_EEE10hipError_tPvRmT3_T4_T5_T6_T7_T9_mT8_P12ihipStream_tbDpT10_ENKUlT_T0_E_clISt17integral_constantIbLb0EES19_IbLb1EEEEDaS15_S16_EUlS15_E_NS1_11comp_targetILNS1_3genE10ELNS1_11target_archE1200ELNS1_3gpuE4ELNS1_3repE0EEENS1_30default_config_static_selectorELNS0_4arch9wavefront6targetE1EEEvT1_,comdat
.Lfunc_end41:
	.size	_ZN7rocprim17ROCPRIM_400000_NS6detail17trampoline_kernelINS0_14default_configENS1_25partition_config_selectorILNS1_17partition_subalgoE9EiibEEZZNS1_14partition_implILS5_9ELb0ES3_jPKiN6thrust23THRUST_200600_302600_NS17counting_iteratorIiNSB_11use_defaultESD_SD_EEPNS0_10empty_typeENS0_5tupleIJPiSF_EEENSH_IJSI_SG_EEENS0_18inequality_wrapperIN6hipcub16HIPCUB_304000_NS8EqualityEEEPlJSF_EEE10hipError_tPvRmT3_T4_T5_T6_T7_T9_mT8_P12ihipStream_tbDpT10_ENKUlT_T0_E_clISt17integral_constantIbLb0EES19_IbLb1EEEEDaS15_S16_EUlS15_E_NS1_11comp_targetILNS1_3genE10ELNS1_11target_archE1200ELNS1_3gpuE4ELNS1_3repE0EEENS1_30default_config_static_selectorELNS0_4arch9wavefront6targetE1EEEvT1_, .Lfunc_end41-_ZN7rocprim17ROCPRIM_400000_NS6detail17trampoline_kernelINS0_14default_configENS1_25partition_config_selectorILNS1_17partition_subalgoE9EiibEEZZNS1_14partition_implILS5_9ELb0ES3_jPKiN6thrust23THRUST_200600_302600_NS17counting_iteratorIiNSB_11use_defaultESD_SD_EEPNS0_10empty_typeENS0_5tupleIJPiSF_EEENSH_IJSI_SG_EEENS0_18inequality_wrapperIN6hipcub16HIPCUB_304000_NS8EqualityEEEPlJSF_EEE10hipError_tPvRmT3_T4_T5_T6_T7_T9_mT8_P12ihipStream_tbDpT10_ENKUlT_T0_E_clISt17integral_constantIbLb0EES19_IbLb1EEEEDaS15_S16_EUlS15_E_NS1_11comp_targetILNS1_3genE10ELNS1_11target_archE1200ELNS1_3gpuE4ELNS1_3repE0EEENS1_30default_config_static_selectorELNS0_4arch9wavefront6targetE1EEEvT1_
                                        ; -- End function
	.section	.AMDGPU.csdata,"",@progbits
; Kernel info:
; codeLenInByte = 0
; NumSgprs: 6
; NumVgprs: 0
; NumAgprs: 0
; TotalNumVgprs: 0
; ScratchSize: 0
; MemoryBound: 0
; FloatMode: 240
; IeeeMode: 1
; LDSByteSize: 0 bytes/workgroup (compile time only)
; SGPRBlocks: 0
; VGPRBlocks: 0
; NumSGPRsForWavesPerEU: 6
; NumVGPRsForWavesPerEU: 1
; AccumOffset: 4
; Occupancy: 8
; WaveLimiterHint : 0
; COMPUTE_PGM_RSRC2:SCRATCH_EN: 0
; COMPUTE_PGM_RSRC2:USER_SGPR: 2
; COMPUTE_PGM_RSRC2:TRAP_HANDLER: 0
; COMPUTE_PGM_RSRC2:TGID_X_EN: 1
; COMPUTE_PGM_RSRC2:TGID_Y_EN: 0
; COMPUTE_PGM_RSRC2:TGID_Z_EN: 0
; COMPUTE_PGM_RSRC2:TIDIG_COMP_CNT: 0
; COMPUTE_PGM_RSRC3_GFX90A:ACCUM_OFFSET: 0
; COMPUTE_PGM_RSRC3_GFX90A:TG_SPLIT: 0
	.section	.text._ZN7rocprim17ROCPRIM_400000_NS6detail17trampoline_kernelINS0_14default_configENS1_25partition_config_selectorILNS1_17partition_subalgoE9EiibEEZZNS1_14partition_implILS5_9ELb0ES3_jPKiN6thrust23THRUST_200600_302600_NS17counting_iteratorIiNSB_11use_defaultESD_SD_EEPNS0_10empty_typeENS0_5tupleIJPiSF_EEENSH_IJSI_SG_EEENS0_18inequality_wrapperIN6hipcub16HIPCUB_304000_NS8EqualityEEEPlJSF_EEE10hipError_tPvRmT3_T4_T5_T6_T7_T9_mT8_P12ihipStream_tbDpT10_ENKUlT_T0_E_clISt17integral_constantIbLb0EES19_IbLb1EEEEDaS15_S16_EUlS15_E_NS1_11comp_targetILNS1_3genE9ELNS1_11target_archE1100ELNS1_3gpuE3ELNS1_3repE0EEENS1_30default_config_static_selectorELNS0_4arch9wavefront6targetE1EEEvT1_,"axG",@progbits,_ZN7rocprim17ROCPRIM_400000_NS6detail17trampoline_kernelINS0_14default_configENS1_25partition_config_selectorILNS1_17partition_subalgoE9EiibEEZZNS1_14partition_implILS5_9ELb0ES3_jPKiN6thrust23THRUST_200600_302600_NS17counting_iteratorIiNSB_11use_defaultESD_SD_EEPNS0_10empty_typeENS0_5tupleIJPiSF_EEENSH_IJSI_SG_EEENS0_18inequality_wrapperIN6hipcub16HIPCUB_304000_NS8EqualityEEEPlJSF_EEE10hipError_tPvRmT3_T4_T5_T6_T7_T9_mT8_P12ihipStream_tbDpT10_ENKUlT_T0_E_clISt17integral_constantIbLb0EES19_IbLb1EEEEDaS15_S16_EUlS15_E_NS1_11comp_targetILNS1_3genE9ELNS1_11target_archE1100ELNS1_3gpuE3ELNS1_3repE0EEENS1_30default_config_static_selectorELNS0_4arch9wavefront6targetE1EEEvT1_,comdat
	.protected	_ZN7rocprim17ROCPRIM_400000_NS6detail17trampoline_kernelINS0_14default_configENS1_25partition_config_selectorILNS1_17partition_subalgoE9EiibEEZZNS1_14partition_implILS5_9ELb0ES3_jPKiN6thrust23THRUST_200600_302600_NS17counting_iteratorIiNSB_11use_defaultESD_SD_EEPNS0_10empty_typeENS0_5tupleIJPiSF_EEENSH_IJSI_SG_EEENS0_18inequality_wrapperIN6hipcub16HIPCUB_304000_NS8EqualityEEEPlJSF_EEE10hipError_tPvRmT3_T4_T5_T6_T7_T9_mT8_P12ihipStream_tbDpT10_ENKUlT_T0_E_clISt17integral_constantIbLb0EES19_IbLb1EEEEDaS15_S16_EUlS15_E_NS1_11comp_targetILNS1_3genE9ELNS1_11target_archE1100ELNS1_3gpuE3ELNS1_3repE0EEENS1_30default_config_static_selectorELNS0_4arch9wavefront6targetE1EEEvT1_ ; -- Begin function _ZN7rocprim17ROCPRIM_400000_NS6detail17trampoline_kernelINS0_14default_configENS1_25partition_config_selectorILNS1_17partition_subalgoE9EiibEEZZNS1_14partition_implILS5_9ELb0ES3_jPKiN6thrust23THRUST_200600_302600_NS17counting_iteratorIiNSB_11use_defaultESD_SD_EEPNS0_10empty_typeENS0_5tupleIJPiSF_EEENSH_IJSI_SG_EEENS0_18inequality_wrapperIN6hipcub16HIPCUB_304000_NS8EqualityEEEPlJSF_EEE10hipError_tPvRmT3_T4_T5_T6_T7_T9_mT8_P12ihipStream_tbDpT10_ENKUlT_T0_E_clISt17integral_constantIbLb0EES19_IbLb1EEEEDaS15_S16_EUlS15_E_NS1_11comp_targetILNS1_3genE9ELNS1_11target_archE1100ELNS1_3gpuE3ELNS1_3repE0EEENS1_30default_config_static_selectorELNS0_4arch9wavefront6targetE1EEEvT1_
	.globl	_ZN7rocprim17ROCPRIM_400000_NS6detail17trampoline_kernelINS0_14default_configENS1_25partition_config_selectorILNS1_17partition_subalgoE9EiibEEZZNS1_14partition_implILS5_9ELb0ES3_jPKiN6thrust23THRUST_200600_302600_NS17counting_iteratorIiNSB_11use_defaultESD_SD_EEPNS0_10empty_typeENS0_5tupleIJPiSF_EEENSH_IJSI_SG_EEENS0_18inequality_wrapperIN6hipcub16HIPCUB_304000_NS8EqualityEEEPlJSF_EEE10hipError_tPvRmT3_T4_T5_T6_T7_T9_mT8_P12ihipStream_tbDpT10_ENKUlT_T0_E_clISt17integral_constantIbLb0EES19_IbLb1EEEEDaS15_S16_EUlS15_E_NS1_11comp_targetILNS1_3genE9ELNS1_11target_archE1100ELNS1_3gpuE3ELNS1_3repE0EEENS1_30default_config_static_selectorELNS0_4arch9wavefront6targetE1EEEvT1_
	.p2align	8
	.type	_ZN7rocprim17ROCPRIM_400000_NS6detail17trampoline_kernelINS0_14default_configENS1_25partition_config_selectorILNS1_17partition_subalgoE9EiibEEZZNS1_14partition_implILS5_9ELb0ES3_jPKiN6thrust23THRUST_200600_302600_NS17counting_iteratorIiNSB_11use_defaultESD_SD_EEPNS0_10empty_typeENS0_5tupleIJPiSF_EEENSH_IJSI_SG_EEENS0_18inequality_wrapperIN6hipcub16HIPCUB_304000_NS8EqualityEEEPlJSF_EEE10hipError_tPvRmT3_T4_T5_T6_T7_T9_mT8_P12ihipStream_tbDpT10_ENKUlT_T0_E_clISt17integral_constantIbLb0EES19_IbLb1EEEEDaS15_S16_EUlS15_E_NS1_11comp_targetILNS1_3genE9ELNS1_11target_archE1100ELNS1_3gpuE3ELNS1_3repE0EEENS1_30default_config_static_selectorELNS0_4arch9wavefront6targetE1EEEvT1_,@function
_ZN7rocprim17ROCPRIM_400000_NS6detail17trampoline_kernelINS0_14default_configENS1_25partition_config_selectorILNS1_17partition_subalgoE9EiibEEZZNS1_14partition_implILS5_9ELb0ES3_jPKiN6thrust23THRUST_200600_302600_NS17counting_iteratorIiNSB_11use_defaultESD_SD_EEPNS0_10empty_typeENS0_5tupleIJPiSF_EEENSH_IJSI_SG_EEENS0_18inequality_wrapperIN6hipcub16HIPCUB_304000_NS8EqualityEEEPlJSF_EEE10hipError_tPvRmT3_T4_T5_T6_T7_T9_mT8_P12ihipStream_tbDpT10_ENKUlT_T0_E_clISt17integral_constantIbLb0EES19_IbLb1EEEEDaS15_S16_EUlS15_E_NS1_11comp_targetILNS1_3genE9ELNS1_11target_archE1100ELNS1_3gpuE3ELNS1_3repE0EEENS1_30default_config_static_selectorELNS0_4arch9wavefront6targetE1EEEvT1_: ; @_ZN7rocprim17ROCPRIM_400000_NS6detail17trampoline_kernelINS0_14default_configENS1_25partition_config_selectorILNS1_17partition_subalgoE9EiibEEZZNS1_14partition_implILS5_9ELb0ES3_jPKiN6thrust23THRUST_200600_302600_NS17counting_iteratorIiNSB_11use_defaultESD_SD_EEPNS0_10empty_typeENS0_5tupleIJPiSF_EEENSH_IJSI_SG_EEENS0_18inequality_wrapperIN6hipcub16HIPCUB_304000_NS8EqualityEEEPlJSF_EEE10hipError_tPvRmT3_T4_T5_T6_T7_T9_mT8_P12ihipStream_tbDpT10_ENKUlT_T0_E_clISt17integral_constantIbLb0EES19_IbLb1EEEEDaS15_S16_EUlS15_E_NS1_11comp_targetILNS1_3genE9ELNS1_11target_archE1100ELNS1_3gpuE3ELNS1_3repE0EEENS1_30default_config_static_selectorELNS0_4arch9wavefront6targetE1EEEvT1_
; %bb.0:
	.section	.rodata,"a",@progbits
	.p2align	6, 0x0
	.amdhsa_kernel _ZN7rocprim17ROCPRIM_400000_NS6detail17trampoline_kernelINS0_14default_configENS1_25partition_config_selectorILNS1_17partition_subalgoE9EiibEEZZNS1_14partition_implILS5_9ELb0ES3_jPKiN6thrust23THRUST_200600_302600_NS17counting_iteratorIiNSB_11use_defaultESD_SD_EEPNS0_10empty_typeENS0_5tupleIJPiSF_EEENSH_IJSI_SG_EEENS0_18inequality_wrapperIN6hipcub16HIPCUB_304000_NS8EqualityEEEPlJSF_EEE10hipError_tPvRmT3_T4_T5_T6_T7_T9_mT8_P12ihipStream_tbDpT10_ENKUlT_T0_E_clISt17integral_constantIbLb0EES19_IbLb1EEEEDaS15_S16_EUlS15_E_NS1_11comp_targetILNS1_3genE9ELNS1_11target_archE1100ELNS1_3gpuE3ELNS1_3repE0EEENS1_30default_config_static_selectorELNS0_4arch9wavefront6targetE1EEEvT1_
		.amdhsa_group_segment_fixed_size 0
		.amdhsa_private_segment_fixed_size 0
		.amdhsa_kernarg_size 128
		.amdhsa_user_sgpr_count 2
		.amdhsa_user_sgpr_dispatch_ptr 0
		.amdhsa_user_sgpr_queue_ptr 0
		.amdhsa_user_sgpr_kernarg_segment_ptr 1
		.amdhsa_user_sgpr_dispatch_id 0
		.amdhsa_user_sgpr_kernarg_preload_length 0
		.amdhsa_user_sgpr_kernarg_preload_offset 0
		.amdhsa_user_sgpr_private_segment_size 0
		.amdhsa_uses_dynamic_stack 0
		.amdhsa_enable_private_segment 0
		.amdhsa_system_sgpr_workgroup_id_x 1
		.amdhsa_system_sgpr_workgroup_id_y 0
		.amdhsa_system_sgpr_workgroup_id_z 0
		.amdhsa_system_sgpr_workgroup_info 0
		.amdhsa_system_vgpr_workitem_id 0
		.amdhsa_next_free_vgpr 1
		.amdhsa_next_free_sgpr 0
		.amdhsa_accum_offset 4
		.amdhsa_reserve_vcc 0
		.amdhsa_float_round_mode_32 0
		.amdhsa_float_round_mode_16_64 0
		.amdhsa_float_denorm_mode_32 3
		.amdhsa_float_denorm_mode_16_64 3
		.amdhsa_dx10_clamp 1
		.amdhsa_ieee_mode 1
		.amdhsa_fp16_overflow 0
		.amdhsa_tg_split 0
		.amdhsa_exception_fp_ieee_invalid_op 0
		.amdhsa_exception_fp_denorm_src 0
		.amdhsa_exception_fp_ieee_div_zero 0
		.amdhsa_exception_fp_ieee_overflow 0
		.amdhsa_exception_fp_ieee_underflow 0
		.amdhsa_exception_fp_ieee_inexact 0
		.amdhsa_exception_int_div_zero 0
	.end_amdhsa_kernel
	.section	.text._ZN7rocprim17ROCPRIM_400000_NS6detail17trampoline_kernelINS0_14default_configENS1_25partition_config_selectorILNS1_17partition_subalgoE9EiibEEZZNS1_14partition_implILS5_9ELb0ES3_jPKiN6thrust23THRUST_200600_302600_NS17counting_iteratorIiNSB_11use_defaultESD_SD_EEPNS0_10empty_typeENS0_5tupleIJPiSF_EEENSH_IJSI_SG_EEENS0_18inequality_wrapperIN6hipcub16HIPCUB_304000_NS8EqualityEEEPlJSF_EEE10hipError_tPvRmT3_T4_T5_T6_T7_T9_mT8_P12ihipStream_tbDpT10_ENKUlT_T0_E_clISt17integral_constantIbLb0EES19_IbLb1EEEEDaS15_S16_EUlS15_E_NS1_11comp_targetILNS1_3genE9ELNS1_11target_archE1100ELNS1_3gpuE3ELNS1_3repE0EEENS1_30default_config_static_selectorELNS0_4arch9wavefront6targetE1EEEvT1_,"axG",@progbits,_ZN7rocprim17ROCPRIM_400000_NS6detail17trampoline_kernelINS0_14default_configENS1_25partition_config_selectorILNS1_17partition_subalgoE9EiibEEZZNS1_14partition_implILS5_9ELb0ES3_jPKiN6thrust23THRUST_200600_302600_NS17counting_iteratorIiNSB_11use_defaultESD_SD_EEPNS0_10empty_typeENS0_5tupleIJPiSF_EEENSH_IJSI_SG_EEENS0_18inequality_wrapperIN6hipcub16HIPCUB_304000_NS8EqualityEEEPlJSF_EEE10hipError_tPvRmT3_T4_T5_T6_T7_T9_mT8_P12ihipStream_tbDpT10_ENKUlT_T0_E_clISt17integral_constantIbLb0EES19_IbLb1EEEEDaS15_S16_EUlS15_E_NS1_11comp_targetILNS1_3genE9ELNS1_11target_archE1100ELNS1_3gpuE3ELNS1_3repE0EEENS1_30default_config_static_selectorELNS0_4arch9wavefront6targetE1EEEvT1_,comdat
.Lfunc_end42:
	.size	_ZN7rocprim17ROCPRIM_400000_NS6detail17trampoline_kernelINS0_14default_configENS1_25partition_config_selectorILNS1_17partition_subalgoE9EiibEEZZNS1_14partition_implILS5_9ELb0ES3_jPKiN6thrust23THRUST_200600_302600_NS17counting_iteratorIiNSB_11use_defaultESD_SD_EEPNS0_10empty_typeENS0_5tupleIJPiSF_EEENSH_IJSI_SG_EEENS0_18inequality_wrapperIN6hipcub16HIPCUB_304000_NS8EqualityEEEPlJSF_EEE10hipError_tPvRmT3_T4_T5_T6_T7_T9_mT8_P12ihipStream_tbDpT10_ENKUlT_T0_E_clISt17integral_constantIbLb0EES19_IbLb1EEEEDaS15_S16_EUlS15_E_NS1_11comp_targetILNS1_3genE9ELNS1_11target_archE1100ELNS1_3gpuE3ELNS1_3repE0EEENS1_30default_config_static_selectorELNS0_4arch9wavefront6targetE1EEEvT1_, .Lfunc_end42-_ZN7rocprim17ROCPRIM_400000_NS6detail17trampoline_kernelINS0_14default_configENS1_25partition_config_selectorILNS1_17partition_subalgoE9EiibEEZZNS1_14partition_implILS5_9ELb0ES3_jPKiN6thrust23THRUST_200600_302600_NS17counting_iteratorIiNSB_11use_defaultESD_SD_EEPNS0_10empty_typeENS0_5tupleIJPiSF_EEENSH_IJSI_SG_EEENS0_18inequality_wrapperIN6hipcub16HIPCUB_304000_NS8EqualityEEEPlJSF_EEE10hipError_tPvRmT3_T4_T5_T6_T7_T9_mT8_P12ihipStream_tbDpT10_ENKUlT_T0_E_clISt17integral_constantIbLb0EES19_IbLb1EEEEDaS15_S16_EUlS15_E_NS1_11comp_targetILNS1_3genE9ELNS1_11target_archE1100ELNS1_3gpuE3ELNS1_3repE0EEENS1_30default_config_static_selectorELNS0_4arch9wavefront6targetE1EEEvT1_
                                        ; -- End function
	.section	.AMDGPU.csdata,"",@progbits
; Kernel info:
; codeLenInByte = 0
; NumSgprs: 6
; NumVgprs: 0
; NumAgprs: 0
; TotalNumVgprs: 0
; ScratchSize: 0
; MemoryBound: 0
; FloatMode: 240
; IeeeMode: 1
; LDSByteSize: 0 bytes/workgroup (compile time only)
; SGPRBlocks: 0
; VGPRBlocks: 0
; NumSGPRsForWavesPerEU: 6
; NumVGPRsForWavesPerEU: 1
; AccumOffset: 4
; Occupancy: 8
; WaveLimiterHint : 0
; COMPUTE_PGM_RSRC2:SCRATCH_EN: 0
; COMPUTE_PGM_RSRC2:USER_SGPR: 2
; COMPUTE_PGM_RSRC2:TRAP_HANDLER: 0
; COMPUTE_PGM_RSRC2:TGID_X_EN: 1
; COMPUTE_PGM_RSRC2:TGID_Y_EN: 0
; COMPUTE_PGM_RSRC2:TGID_Z_EN: 0
; COMPUTE_PGM_RSRC2:TIDIG_COMP_CNT: 0
; COMPUTE_PGM_RSRC3_GFX90A:ACCUM_OFFSET: 0
; COMPUTE_PGM_RSRC3_GFX90A:TG_SPLIT: 0
	.section	.text._ZN7rocprim17ROCPRIM_400000_NS6detail17trampoline_kernelINS0_14default_configENS1_25partition_config_selectorILNS1_17partition_subalgoE9EiibEEZZNS1_14partition_implILS5_9ELb0ES3_jPKiN6thrust23THRUST_200600_302600_NS17counting_iteratorIiNSB_11use_defaultESD_SD_EEPNS0_10empty_typeENS0_5tupleIJPiSF_EEENSH_IJSI_SG_EEENS0_18inequality_wrapperIN6hipcub16HIPCUB_304000_NS8EqualityEEEPlJSF_EEE10hipError_tPvRmT3_T4_T5_T6_T7_T9_mT8_P12ihipStream_tbDpT10_ENKUlT_T0_E_clISt17integral_constantIbLb0EES19_IbLb1EEEEDaS15_S16_EUlS15_E_NS1_11comp_targetILNS1_3genE8ELNS1_11target_archE1030ELNS1_3gpuE2ELNS1_3repE0EEENS1_30default_config_static_selectorELNS0_4arch9wavefront6targetE1EEEvT1_,"axG",@progbits,_ZN7rocprim17ROCPRIM_400000_NS6detail17trampoline_kernelINS0_14default_configENS1_25partition_config_selectorILNS1_17partition_subalgoE9EiibEEZZNS1_14partition_implILS5_9ELb0ES3_jPKiN6thrust23THRUST_200600_302600_NS17counting_iteratorIiNSB_11use_defaultESD_SD_EEPNS0_10empty_typeENS0_5tupleIJPiSF_EEENSH_IJSI_SG_EEENS0_18inequality_wrapperIN6hipcub16HIPCUB_304000_NS8EqualityEEEPlJSF_EEE10hipError_tPvRmT3_T4_T5_T6_T7_T9_mT8_P12ihipStream_tbDpT10_ENKUlT_T0_E_clISt17integral_constantIbLb0EES19_IbLb1EEEEDaS15_S16_EUlS15_E_NS1_11comp_targetILNS1_3genE8ELNS1_11target_archE1030ELNS1_3gpuE2ELNS1_3repE0EEENS1_30default_config_static_selectorELNS0_4arch9wavefront6targetE1EEEvT1_,comdat
	.protected	_ZN7rocprim17ROCPRIM_400000_NS6detail17trampoline_kernelINS0_14default_configENS1_25partition_config_selectorILNS1_17partition_subalgoE9EiibEEZZNS1_14partition_implILS5_9ELb0ES3_jPKiN6thrust23THRUST_200600_302600_NS17counting_iteratorIiNSB_11use_defaultESD_SD_EEPNS0_10empty_typeENS0_5tupleIJPiSF_EEENSH_IJSI_SG_EEENS0_18inequality_wrapperIN6hipcub16HIPCUB_304000_NS8EqualityEEEPlJSF_EEE10hipError_tPvRmT3_T4_T5_T6_T7_T9_mT8_P12ihipStream_tbDpT10_ENKUlT_T0_E_clISt17integral_constantIbLb0EES19_IbLb1EEEEDaS15_S16_EUlS15_E_NS1_11comp_targetILNS1_3genE8ELNS1_11target_archE1030ELNS1_3gpuE2ELNS1_3repE0EEENS1_30default_config_static_selectorELNS0_4arch9wavefront6targetE1EEEvT1_ ; -- Begin function _ZN7rocprim17ROCPRIM_400000_NS6detail17trampoline_kernelINS0_14default_configENS1_25partition_config_selectorILNS1_17partition_subalgoE9EiibEEZZNS1_14partition_implILS5_9ELb0ES3_jPKiN6thrust23THRUST_200600_302600_NS17counting_iteratorIiNSB_11use_defaultESD_SD_EEPNS0_10empty_typeENS0_5tupleIJPiSF_EEENSH_IJSI_SG_EEENS0_18inequality_wrapperIN6hipcub16HIPCUB_304000_NS8EqualityEEEPlJSF_EEE10hipError_tPvRmT3_T4_T5_T6_T7_T9_mT8_P12ihipStream_tbDpT10_ENKUlT_T0_E_clISt17integral_constantIbLb0EES19_IbLb1EEEEDaS15_S16_EUlS15_E_NS1_11comp_targetILNS1_3genE8ELNS1_11target_archE1030ELNS1_3gpuE2ELNS1_3repE0EEENS1_30default_config_static_selectorELNS0_4arch9wavefront6targetE1EEEvT1_
	.globl	_ZN7rocprim17ROCPRIM_400000_NS6detail17trampoline_kernelINS0_14default_configENS1_25partition_config_selectorILNS1_17partition_subalgoE9EiibEEZZNS1_14partition_implILS5_9ELb0ES3_jPKiN6thrust23THRUST_200600_302600_NS17counting_iteratorIiNSB_11use_defaultESD_SD_EEPNS0_10empty_typeENS0_5tupleIJPiSF_EEENSH_IJSI_SG_EEENS0_18inequality_wrapperIN6hipcub16HIPCUB_304000_NS8EqualityEEEPlJSF_EEE10hipError_tPvRmT3_T4_T5_T6_T7_T9_mT8_P12ihipStream_tbDpT10_ENKUlT_T0_E_clISt17integral_constantIbLb0EES19_IbLb1EEEEDaS15_S16_EUlS15_E_NS1_11comp_targetILNS1_3genE8ELNS1_11target_archE1030ELNS1_3gpuE2ELNS1_3repE0EEENS1_30default_config_static_selectorELNS0_4arch9wavefront6targetE1EEEvT1_
	.p2align	8
	.type	_ZN7rocprim17ROCPRIM_400000_NS6detail17trampoline_kernelINS0_14default_configENS1_25partition_config_selectorILNS1_17partition_subalgoE9EiibEEZZNS1_14partition_implILS5_9ELb0ES3_jPKiN6thrust23THRUST_200600_302600_NS17counting_iteratorIiNSB_11use_defaultESD_SD_EEPNS0_10empty_typeENS0_5tupleIJPiSF_EEENSH_IJSI_SG_EEENS0_18inequality_wrapperIN6hipcub16HIPCUB_304000_NS8EqualityEEEPlJSF_EEE10hipError_tPvRmT3_T4_T5_T6_T7_T9_mT8_P12ihipStream_tbDpT10_ENKUlT_T0_E_clISt17integral_constantIbLb0EES19_IbLb1EEEEDaS15_S16_EUlS15_E_NS1_11comp_targetILNS1_3genE8ELNS1_11target_archE1030ELNS1_3gpuE2ELNS1_3repE0EEENS1_30default_config_static_selectorELNS0_4arch9wavefront6targetE1EEEvT1_,@function
_ZN7rocprim17ROCPRIM_400000_NS6detail17trampoline_kernelINS0_14default_configENS1_25partition_config_selectorILNS1_17partition_subalgoE9EiibEEZZNS1_14partition_implILS5_9ELb0ES3_jPKiN6thrust23THRUST_200600_302600_NS17counting_iteratorIiNSB_11use_defaultESD_SD_EEPNS0_10empty_typeENS0_5tupleIJPiSF_EEENSH_IJSI_SG_EEENS0_18inequality_wrapperIN6hipcub16HIPCUB_304000_NS8EqualityEEEPlJSF_EEE10hipError_tPvRmT3_T4_T5_T6_T7_T9_mT8_P12ihipStream_tbDpT10_ENKUlT_T0_E_clISt17integral_constantIbLb0EES19_IbLb1EEEEDaS15_S16_EUlS15_E_NS1_11comp_targetILNS1_3genE8ELNS1_11target_archE1030ELNS1_3gpuE2ELNS1_3repE0EEENS1_30default_config_static_selectorELNS0_4arch9wavefront6targetE1EEEvT1_: ; @_ZN7rocprim17ROCPRIM_400000_NS6detail17trampoline_kernelINS0_14default_configENS1_25partition_config_selectorILNS1_17partition_subalgoE9EiibEEZZNS1_14partition_implILS5_9ELb0ES3_jPKiN6thrust23THRUST_200600_302600_NS17counting_iteratorIiNSB_11use_defaultESD_SD_EEPNS0_10empty_typeENS0_5tupleIJPiSF_EEENSH_IJSI_SG_EEENS0_18inequality_wrapperIN6hipcub16HIPCUB_304000_NS8EqualityEEEPlJSF_EEE10hipError_tPvRmT3_T4_T5_T6_T7_T9_mT8_P12ihipStream_tbDpT10_ENKUlT_T0_E_clISt17integral_constantIbLb0EES19_IbLb1EEEEDaS15_S16_EUlS15_E_NS1_11comp_targetILNS1_3genE8ELNS1_11target_archE1030ELNS1_3gpuE2ELNS1_3repE0EEENS1_30default_config_static_selectorELNS0_4arch9wavefront6targetE1EEEvT1_
; %bb.0:
	.section	.rodata,"a",@progbits
	.p2align	6, 0x0
	.amdhsa_kernel _ZN7rocprim17ROCPRIM_400000_NS6detail17trampoline_kernelINS0_14default_configENS1_25partition_config_selectorILNS1_17partition_subalgoE9EiibEEZZNS1_14partition_implILS5_9ELb0ES3_jPKiN6thrust23THRUST_200600_302600_NS17counting_iteratorIiNSB_11use_defaultESD_SD_EEPNS0_10empty_typeENS0_5tupleIJPiSF_EEENSH_IJSI_SG_EEENS0_18inequality_wrapperIN6hipcub16HIPCUB_304000_NS8EqualityEEEPlJSF_EEE10hipError_tPvRmT3_T4_T5_T6_T7_T9_mT8_P12ihipStream_tbDpT10_ENKUlT_T0_E_clISt17integral_constantIbLb0EES19_IbLb1EEEEDaS15_S16_EUlS15_E_NS1_11comp_targetILNS1_3genE8ELNS1_11target_archE1030ELNS1_3gpuE2ELNS1_3repE0EEENS1_30default_config_static_selectorELNS0_4arch9wavefront6targetE1EEEvT1_
		.amdhsa_group_segment_fixed_size 0
		.amdhsa_private_segment_fixed_size 0
		.amdhsa_kernarg_size 128
		.amdhsa_user_sgpr_count 2
		.amdhsa_user_sgpr_dispatch_ptr 0
		.amdhsa_user_sgpr_queue_ptr 0
		.amdhsa_user_sgpr_kernarg_segment_ptr 1
		.amdhsa_user_sgpr_dispatch_id 0
		.amdhsa_user_sgpr_kernarg_preload_length 0
		.amdhsa_user_sgpr_kernarg_preload_offset 0
		.amdhsa_user_sgpr_private_segment_size 0
		.amdhsa_uses_dynamic_stack 0
		.amdhsa_enable_private_segment 0
		.amdhsa_system_sgpr_workgroup_id_x 1
		.amdhsa_system_sgpr_workgroup_id_y 0
		.amdhsa_system_sgpr_workgroup_id_z 0
		.amdhsa_system_sgpr_workgroup_info 0
		.amdhsa_system_vgpr_workitem_id 0
		.amdhsa_next_free_vgpr 1
		.amdhsa_next_free_sgpr 0
		.amdhsa_accum_offset 4
		.amdhsa_reserve_vcc 0
		.amdhsa_float_round_mode_32 0
		.amdhsa_float_round_mode_16_64 0
		.amdhsa_float_denorm_mode_32 3
		.amdhsa_float_denorm_mode_16_64 3
		.amdhsa_dx10_clamp 1
		.amdhsa_ieee_mode 1
		.amdhsa_fp16_overflow 0
		.amdhsa_tg_split 0
		.amdhsa_exception_fp_ieee_invalid_op 0
		.amdhsa_exception_fp_denorm_src 0
		.amdhsa_exception_fp_ieee_div_zero 0
		.amdhsa_exception_fp_ieee_overflow 0
		.amdhsa_exception_fp_ieee_underflow 0
		.amdhsa_exception_fp_ieee_inexact 0
		.amdhsa_exception_int_div_zero 0
	.end_amdhsa_kernel
	.section	.text._ZN7rocprim17ROCPRIM_400000_NS6detail17trampoline_kernelINS0_14default_configENS1_25partition_config_selectorILNS1_17partition_subalgoE9EiibEEZZNS1_14partition_implILS5_9ELb0ES3_jPKiN6thrust23THRUST_200600_302600_NS17counting_iteratorIiNSB_11use_defaultESD_SD_EEPNS0_10empty_typeENS0_5tupleIJPiSF_EEENSH_IJSI_SG_EEENS0_18inequality_wrapperIN6hipcub16HIPCUB_304000_NS8EqualityEEEPlJSF_EEE10hipError_tPvRmT3_T4_T5_T6_T7_T9_mT8_P12ihipStream_tbDpT10_ENKUlT_T0_E_clISt17integral_constantIbLb0EES19_IbLb1EEEEDaS15_S16_EUlS15_E_NS1_11comp_targetILNS1_3genE8ELNS1_11target_archE1030ELNS1_3gpuE2ELNS1_3repE0EEENS1_30default_config_static_selectorELNS0_4arch9wavefront6targetE1EEEvT1_,"axG",@progbits,_ZN7rocprim17ROCPRIM_400000_NS6detail17trampoline_kernelINS0_14default_configENS1_25partition_config_selectorILNS1_17partition_subalgoE9EiibEEZZNS1_14partition_implILS5_9ELb0ES3_jPKiN6thrust23THRUST_200600_302600_NS17counting_iteratorIiNSB_11use_defaultESD_SD_EEPNS0_10empty_typeENS0_5tupleIJPiSF_EEENSH_IJSI_SG_EEENS0_18inequality_wrapperIN6hipcub16HIPCUB_304000_NS8EqualityEEEPlJSF_EEE10hipError_tPvRmT3_T4_T5_T6_T7_T9_mT8_P12ihipStream_tbDpT10_ENKUlT_T0_E_clISt17integral_constantIbLb0EES19_IbLb1EEEEDaS15_S16_EUlS15_E_NS1_11comp_targetILNS1_3genE8ELNS1_11target_archE1030ELNS1_3gpuE2ELNS1_3repE0EEENS1_30default_config_static_selectorELNS0_4arch9wavefront6targetE1EEEvT1_,comdat
.Lfunc_end43:
	.size	_ZN7rocprim17ROCPRIM_400000_NS6detail17trampoline_kernelINS0_14default_configENS1_25partition_config_selectorILNS1_17partition_subalgoE9EiibEEZZNS1_14partition_implILS5_9ELb0ES3_jPKiN6thrust23THRUST_200600_302600_NS17counting_iteratorIiNSB_11use_defaultESD_SD_EEPNS0_10empty_typeENS0_5tupleIJPiSF_EEENSH_IJSI_SG_EEENS0_18inequality_wrapperIN6hipcub16HIPCUB_304000_NS8EqualityEEEPlJSF_EEE10hipError_tPvRmT3_T4_T5_T6_T7_T9_mT8_P12ihipStream_tbDpT10_ENKUlT_T0_E_clISt17integral_constantIbLb0EES19_IbLb1EEEEDaS15_S16_EUlS15_E_NS1_11comp_targetILNS1_3genE8ELNS1_11target_archE1030ELNS1_3gpuE2ELNS1_3repE0EEENS1_30default_config_static_selectorELNS0_4arch9wavefront6targetE1EEEvT1_, .Lfunc_end43-_ZN7rocprim17ROCPRIM_400000_NS6detail17trampoline_kernelINS0_14default_configENS1_25partition_config_selectorILNS1_17partition_subalgoE9EiibEEZZNS1_14partition_implILS5_9ELb0ES3_jPKiN6thrust23THRUST_200600_302600_NS17counting_iteratorIiNSB_11use_defaultESD_SD_EEPNS0_10empty_typeENS0_5tupleIJPiSF_EEENSH_IJSI_SG_EEENS0_18inequality_wrapperIN6hipcub16HIPCUB_304000_NS8EqualityEEEPlJSF_EEE10hipError_tPvRmT3_T4_T5_T6_T7_T9_mT8_P12ihipStream_tbDpT10_ENKUlT_T0_E_clISt17integral_constantIbLb0EES19_IbLb1EEEEDaS15_S16_EUlS15_E_NS1_11comp_targetILNS1_3genE8ELNS1_11target_archE1030ELNS1_3gpuE2ELNS1_3repE0EEENS1_30default_config_static_selectorELNS0_4arch9wavefront6targetE1EEEvT1_
                                        ; -- End function
	.section	.AMDGPU.csdata,"",@progbits
; Kernel info:
; codeLenInByte = 0
; NumSgprs: 6
; NumVgprs: 0
; NumAgprs: 0
; TotalNumVgprs: 0
; ScratchSize: 0
; MemoryBound: 0
; FloatMode: 240
; IeeeMode: 1
; LDSByteSize: 0 bytes/workgroup (compile time only)
; SGPRBlocks: 0
; VGPRBlocks: 0
; NumSGPRsForWavesPerEU: 6
; NumVGPRsForWavesPerEU: 1
; AccumOffset: 4
; Occupancy: 8
; WaveLimiterHint : 0
; COMPUTE_PGM_RSRC2:SCRATCH_EN: 0
; COMPUTE_PGM_RSRC2:USER_SGPR: 2
; COMPUTE_PGM_RSRC2:TRAP_HANDLER: 0
; COMPUTE_PGM_RSRC2:TGID_X_EN: 1
; COMPUTE_PGM_RSRC2:TGID_Y_EN: 0
; COMPUTE_PGM_RSRC2:TGID_Z_EN: 0
; COMPUTE_PGM_RSRC2:TIDIG_COMP_CNT: 0
; COMPUTE_PGM_RSRC3_GFX90A:ACCUM_OFFSET: 0
; COMPUTE_PGM_RSRC3_GFX90A:TG_SPLIT: 0
	.section	.text._ZN7rocprim17ROCPRIM_400000_NS6detail17trampoline_kernelINS0_14default_configENS1_25partition_config_selectorILNS1_17partition_subalgoE9EllbEEZZNS1_14partition_implILS5_9ELb0ES3_jPKlN6thrust23THRUST_200600_302600_NS17counting_iteratorIlNSB_11use_defaultESD_SD_EEPNS0_10empty_typeENS0_5tupleIJPlSF_EEENSH_IJSI_SG_EEENS0_18inequality_wrapperIN6hipcub16HIPCUB_304000_NS8EqualityEEESI_JSF_EEE10hipError_tPvRmT3_T4_T5_T6_T7_T9_mT8_P12ihipStream_tbDpT10_ENKUlT_T0_E_clISt17integral_constantIbLb0EES19_EEDaS14_S15_EUlS14_E_NS1_11comp_targetILNS1_3genE0ELNS1_11target_archE4294967295ELNS1_3gpuE0ELNS1_3repE0EEENS1_30default_config_static_selectorELNS0_4arch9wavefront6targetE1EEEvT1_,"axG",@progbits,_ZN7rocprim17ROCPRIM_400000_NS6detail17trampoline_kernelINS0_14default_configENS1_25partition_config_selectorILNS1_17partition_subalgoE9EllbEEZZNS1_14partition_implILS5_9ELb0ES3_jPKlN6thrust23THRUST_200600_302600_NS17counting_iteratorIlNSB_11use_defaultESD_SD_EEPNS0_10empty_typeENS0_5tupleIJPlSF_EEENSH_IJSI_SG_EEENS0_18inequality_wrapperIN6hipcub16HIPCUB_304000_NS8EqualityEEESI_JSF_EEE10hipError_tPvRmT3_T4_T5_T6_T7_T9_mT8_P12ihipStream_tbDpT10_ENKUlT_T0_E_clISt17integral_constantIbLb0EES19_EEDaS14_S15_EUlS14_E_NS1_11comp_targetILNS1_3genE0ELNS1_11target_archE4294967295ELNS1_3gpuE0ELNS1_3repE0EEENS1_30default_config_static_selectorELNS0_4arch9wavefront6targetE1EEEvT1_,comdat
	.protected	_ZN7rocprim17ROCPRIM_400000_NS6detail17trampoline_kernelINS0_14default_configENS1_25partition_config_selectorILNS1_17partition_subalgoE9EllbEEZZNS1_14partition_implILS5_9ELb0ES3_jPKlN6thrust23THRUST_200600_302600_NS17counting_iteratorIlNSB_11use_defaultESD_SD_EEPNS0_10empty_typeENS0_5tupleIJPlSF_EEENSH_IJSI_SG_EEENS0_18inequality_wrapperIN6hipcub16HIPCUB_304000_NS8EqualityEEESI_JSF_EEE10hipError_tPvRmT3_T4_T5_T6_T7_T9_mT8_P12ihipStream_tbDpT10_ENKUlT_T0_E_clISt17integral_constantIbLb0EES19_EEDaS14_S15_EUlS14_E_NS1_11comp_targetILNS1_3genE0ELNS1_11target_archE4294967295ELNS1_3gpuE0ELNS1_3repE0EEENS1_30default_config_static_selectorELNS0_4arch9wavefront6targetE1EEEvT1_ ; -- Begin function _ZN7rocprim17ROCPRIM_400000_NS6detail17trampoline_kernelINS0_14default_configENS1_25partition_config_selectorILNS1_17partition_subalgoE9EllbEEZZNS1_14partition_implILS5_9ELb0ES3_jPKlN6thrust23THRUST_200600_302600_NS17counting_iteratorIlNSB_11use_defaultESD_SD_EEPNS0_10empty_typeENS0_5tupleIJPlSF_EEENSH_IJSI_SG_EEENS0_18inequality_wrapperIN6hipcub16HIPCUB_304000_NS8EqualityEEESI_JSF_EEE10hipError_tPvRmT3_T4_T5_T6_T7_T9_mT8_P12ihipStream_tbDpT10_ENKUlT_T0_E_clISt17integral_constantIbLb0EES19_EEDaS14_S15_EUlS14_E_NS1_11comp_targetILNS1_3genE0ELNS1_11target_archE4294967295ELNS1_3gpuE0ELNS1_3repE0EEENS1_30default_config_static_selectorELNS0_4arch9wavefront6targetE1EEEvT1_
	.globl	_ZN7rocprim17ROCPRIM_400000_NS6detail17trampoline_kernelINS0_14default_configENS1_25partition_config_selectorILNS1_17partition_subalgoE9EllbEEZZNS1_14partition_implILS5_9ELb0ES3_jPKlN6thrust23THRUST_200600_302600_NS17counting_iteratorIlNSB_11use_defaultESD_SD_EEPNS0_10empty_typeENS0_5tupleIJPlSF_EEENSH_IJSI_SG_EEENS0_18inequality_wrapperIN6hipcub16HIPCUB_304000_NS8EqualityEEESI_JSF_EEE10hipError_tPvRmT3_T4_T5_T6_T7_T9_mT8_P12ihipStream_tbDpT10_ENKUlT_T0_E_clISt17integral_constantIbLb0EES19_EEDaS14_S15_EUlS14_E_NS1_11comp_targetILNS1_3genE0ELNS1_11target_archE4294967295ELNS1_3gpuE0ELNS1_3repE0EEENS1_30default_config_static_selectorELNS0_4arch9wavefront6targetE1EEEvT1_
	.p2align	8
	.type	_ZN7rocprim17ROCPRIM_400000_NS6detail17trampoline_kernelINS0_14default_configENS1_25partition_config_selectorILNS1_17partition_subalgoE9EllbEEZZNS1_14partition_implILS5_9ELb0ES3_jPKlN6thrust23THRUST_200600_302600_NS17counting_iteratorIlNSB_11use_defaultESD_SD_EEPNS0_10empty_typeENS0_5tupleIJPlSF_EEENSH_IJSI_SG_EEENS0_18inequality_wrapperIN6hipcub16HIPCUB_304000_NS8EqualityEEESI_JSF_EEE10hipError_tPvRmT3_T4_T5_T6_T7_T9_mT8_P12ihipStream_tbDpT10_ENKUlT_T0_E_clISt17integral_constantIbLb0EES19_EEDaS14_S15_EUlS14_E_NS1_11comp_targetILNS1_3genE0ELNS1_11target_archE4294967295ELNS1_3gpuE0ELNS1_3repE0EEENS1_30default_config_static_selectorELNS0_4arch9wavefront6targetE1EEEvT1_,@function
_ZN7rocprim17ROCPRIM_400000_NS6detail17trampoline_kernelINS0_14default_configENS1_25partition_config_selectorILNS1_17partition_subalgoE9EllbEEZZNS1_14partition_implILS5_9ELb0ES3_jPKlN6thrust23THRUST_200600_302600_NS17counting_iteratorIlNSB_11use_defaultESD_SD_EEPNS0_10empty_typeENS0_5tupleIJPlSF_EEENSH_IJSI_SG_EEENS0_18inequality_wrapperIN6hipcub16HIPCUB_304000_NS8EqualityEEESI_JSF_EEE10hipError_tPvRmT3_T4_T5_T6_T7_T9_mT8_P12ihipStream_tbDpT10_ENKUlT_T0_E_clISt17integral_constantIbLb0EES19_EEDaS14_S15_EUlS14_E_NS1_11comp_targetILNS1_3genE0ELNS1_11target_archE4294967295ELNS1_3gpuE0ELNS1_3repE0EEENS1_30default_config_static_selectorELNS0_4arch9wavefront6targetE1EEEvT1_: ; @_ZN7rocprim17ROCPRIM_400000_NS6detail17trampoline_kernelINS0_14default_configENS1_25partition_config_selectorILNS1_17partition_subalgoE9EllbEEZZNS1_14partition_implILS5_9ELb0ES3_jPKlN6thrust23THRUST_200600_302600_NS17counting_iteratorIlNSB_11use_defaultESD_SD_EEPNS0_10empty_typeENS0_5tupleIJPlSF_EEENSH_IJSI_SG_EEENS0_18inequality_wrapperIN6hipcub16HIPCUB_304000_NS8EqualityEEESI_JSF_EEE10hipError_tPvRmT3_T4_T5_T6_T7_T9_mT8_P12ihipStream_tbDpT10_ENKUlT_T0_E_clISt17integral_constantIbLb0EES19_EEDaS14_S15_EUlS14_E_NS1_11comp_targetILNS1_3genE0ELNS1_11target_archE4294967295ELNS1_3gpuE0ELNS1_3repE0EEENS1_30default_config_static_selectorELNS0_4arch9wavefront6targetE1EEEvT1_
; %bb.0:
	.section	.rodata,"a",@progbits
	.p2align	6, 0x0
	.amdhsa_kernel _ZN7rocprim17ROCPRIM_400000_NS6detail17trampoline_kernelINS0_14default_configENS1_25partition_config_selectorILNS1_17partition_subalgoE9EllbEEZZNS1_14partition_implILS5_9ELb0ES3_jPKlN6thrust23THRUST_200600_302600_NS17counting_iteratorIlNSB_11use_defaultESD_SD_EEPNS0_10empty_typeENS0_5tupleIJPlSF_EEENSH_IJSI_SG_EEENS0_18inequality_wrapperIN6hipcub16HIPCUB_304000_NS8EqualityEEESI_JSF_EEE10hipError_tPvRmT3_T4_T5_T6_T7_T9_mT8_P12ihipStream_tbDpT10_ENKUlT_T0_E_clISt17integral_constantIbLb0EES19_EEDaS14_S15_EUlS14_E_NS1_11comp_targetILNS1_3genE0ELNS1_11target_archE4294967295ELNS1_3gpuE0ELNS1_3repE0EEENS1_30default_config_static_selectorELNS0_4arch9wavefront6targetE1EEEvT1_
		.amdhsa_group_segment_fixed_size 0
		.amdhsa_private_segment_fixed_size 0
		.amdhsa_kernarg_size 112
		.amdhsa_user_sgpr_count 2
		.amdhsa_user_sgpr_dispatch_ptr 0
		.amdhsa_user_sgpr_queue_ptr 0
		.amdhsa_user_sgpr_kernarg_segment_ptr 1
		.amdhsa_user_sgpr_dispatch_id 0
		.amdhsa_user_sgpr_kernarg_preload_length 0
		.amdhsa_user_sgpr_kernarg_preload_offset 0
		.amdhsa_user_sgpr_private_segment_size 0
		.amdhsa_uses_dynamic_stack 0
		.amdhsa_enable_private_segment 0
		.amdhsa_system_sgpr_workgroup_id_x 1
		.amdhsa_system_sgpr_workgroup_id_y 0
		.amdhsa_system_sgpr_workgroup_id_z 0
		.amdhsa_system_sgpr_workgroup_info 0
		.amdhsa_system_vgpr_workitem_id 0
		.amdhsa_next_free_vgpr 1
		.amdhsa_next_free_sgpr 0
		.amdhsa_accum_offset 4
		.amdhsa_reserve_vcc 0
		.amdhsa_float_round_mode_32 0
		.amdhsa_float_round_mode_16_64 0
		.amdhsa_float_denorm_mode_32 3
		.amdhsa_float_denorm_mode_16_64 3
		.amdhsa_dx10_clamp 1
		.amdhsa_ieee_mode 1
		.amdhsa_fp16_overflow 0
		.amdhsa_tg_split 0
		.amdhsa_exception_fp_ieee_invalid_op 0
		.amdhsa_exception_fp_denorm_src 0
		.amdhsa_exception_fp_ieee_div_zero 0
		.amdhsa_exception_fp_ieee_overflow 0
		.amdhsa_exception_fp_ieee_underflow 0
		.amdhsa_exception_fp_ieee_inexact 0
		.amdhsa_exception_int_div_zero 0
	.end_amdhsa_kernel
	.section	.text._ZN7rocprim17ROCPRIM_400000_NS6detail17trampoline_kernelINS0_14default_configENS1_25partition_config_selectorILNS1_17partition_subalgoE9EllbEEZZNS1_14partition_implILS5_9ELb0ES3_jPKlN6thrust23THRUST_200600_302600_NS17counting_iteratorIlNSB_11use_defaultESD_SD_EEPNS0_10empty_typeENS0_5tupleIJPlSF_EEENSH_IJSI_SG_EEENS0_18inequality_wrapperIN6hipcub16HIPCUB_304000_NS8EqualityEEESI_JSF_EEE10hipError_tPvRmT3_T4_T5_T6_T7_T9_mT8_P12ihipStream_tbDpT10_ENKUlT_T0_E_clISt17integral_constantIbLb0EES19_EEDaS14_S15_EUlS14_E_NS1_11comp_targetILNS1_3genE0ELNS1_11target_archE4294967295ELNS1_3gpuE0ELNS1_3repE0EEENS1_30default_config_static_selectorELNS0_4arch9wavefront6targetE1EEEvT1_,"axG",@progbits,_ZN7rocprim17ROCPRIM_400000_NS6detail17trampoline_kernelINS0_14default_configENS1_25partition_config_selectorILNS1_17partition_subalgoE9EllbEEZZNS1_14partition_implILS5_9ELb0ES3_jPKlN6thrust23THRUST_200600_302600_NS17counting_iteratorIlNSB_11use_defaultESD_SD_EEPNS0_10empty_typeENS0_5tupleIJPlSF_EEENSH_IJSI_SG_EEENS0_18inequality_wrapperIN6hipcub16HIPCUB_304000_NS8EqualityEEESI_JSF_EEE10hipError_tPvRmT3_T4_T5_T6_T7_T9_mT8_P12ihipStream_tbDpT10_ENKUlT_T0_E_clISt17integral_constantIbLb0EES19_EEDaS14_S15_EUlS14_E_NS1_11comp_targetILNS1_3genE0ELNS1_11target_archE4294967295ELNS1_3gpuE0ELNS1_3repE0EEENS1_30default_config_static_selectorELNS0_4arch9wavefront6targetE1EEEvT1_,comdat
.Lfunc_end44:
	.size	_ZN7rocprim17ROCPRIM_400000_NS6detail17trampoline_kernelINS0_14default_configENS1_25partition_config_selectorILNS1_17partition_subalgoE9EllbEEZZNS1_14partition_implILS5_9ELb0ES3_jPKlN6thrust23THRUST_200600_302600_NS17counting_iteratorIlNSB_11use_defaultESD_SD_EEPNS0_10empty_typeENS0_5tupleIJPlSF_EEENSH_IJSI_SG_EEENS0_18inequality_wrapperIN6hipcub16HIPCUB_304000_NS8EqualityEEESI_JSF_EEE10hipError_tPvRmT3_T4_T5_T6_T7_T9_mT8_P12ihipStream_tbDpT10_ENKUlT_T0_E_clISt17integral_constantIbLb0EES19_EEDaS14_S15_EUlS14_E_NS1_11comp_targetILNS1_3genE0ELNS1_11target_archE4294967295ELNS1_3gpuE0ELNS1_3repE0EEENS1_30default_config_static_selectorELNS0_4arch9wavefront6targetE1EEEvT1_, .Lfunc_end44-_ZN7rocprim17ROCPRIM_400000_NS6detail17trampoline_kernelINS0_14default_configENS1_25partition_config_selectorILNS1_17partition_subalgoE9EllbEEZZNS1_14partition_implILS5_9ELb0ES3_jPKlN6thrust23THRUST_200600_302600_NS17counting_iteratorIlNSB_11use_defaultESD_SD_EEPNS0_10empty_typeENS0_5tupleIJPlSF_EEENSH_IJSI_SG_EEENS0_18inequality_wrapperIN6hipcub16HIPCUB_304000_NS8EqualityEEESI_JSF_EEE10hipError_tPvRmT3_T4_T5_T6_T7_T9_mT8_P12ihipStream_tbDpT10_ENKUlT_T0_E_clISt17integral_constantIbLb0EES19_EEDaS14_S15_EUlS14_E_NS1_11comp_targetILNS1_3genE0ELNS1_11target_archE4294967295ELNS1_3gpuE0ELNS1_3repE0EEENS1_30default_config_static_selectorELNS0_4arch9wavefront6targetE1EEEvT1_
                                        ; -- End function
	.section	.AMDGPU.csdata,"",@progbits
; Kernel info:
; codeLenInByte = 0
; NumSgprs: 6
; NumVgprs: 0
; NumAgprs: 0
; TotalNumVgprs: 0
; ScratchSize: 0
; MemoryBound: 0
; FloatMode: 240
; IeeeMode: 1
; LDSByteSize: 0 bytes/workgroup (compile time only)
; SGPRBlocks: 0
; VGPRBlocks: 0
; NumSGPRsForWavesPerEU: 6
; NumVGPRsForWavesPerEU: 1
; AccumOffset: 4
; Occupancy: 8
; WaveLimiterHint : 0
; COMPUTE_PGM_RSRC2:SCRATCH_EN: 0
; COMPUTE_PGM_RSRC2:USER_SGPR: 2
; COMPUTE_PGM_RSRC2:TRAP_HANDLER: 0
; COMPUTE_PGM_RSRC2:TGID_X_EN: 1
; COMPUTE_PGM_RSRC2:TGID_Y_EN: 0
; COMPUTE_PGM_RSRC2:TGID_Z_EN: 0
; COMPUTE_PGM_RSRC2:TIDIG_COMP_CNT: 0
; COMPUTE_PGM_RSRC3_GFX90A:ACCUM_OFFSET: 0
; COMPUTE_PGM_RSRC3_GFX90A:TG_SPLIT: 0
	.section	.text._ZN7rocprim17ROCPRIM_400000_NS6detail17trampoline_kernelINS0_14default_configENS1_25partition_config_selectorILNS1_17partition_subalgoE9EllbEEZZNS1_14partition_implILS5_9ELb0ES3_jPKlN6thrust23THRUST_200600_302600_NS17counting_iteratorIlNSB_11use_defaultESD_SD_EEPNS0_10empty_typeENS0_5tupleIJPlSF_EEENSH_IJSI_SG_EEENS0_18inequality_wrapperIN6hipcub16HIPCUB_304000_NS8EqualityEEESI_JSF_EEE10hipError_tPvRmT3_T4_T5_T6_T7_T9_mT8_P12ihipStream_tbDpT10_ENKUlT_T0_E_clISt17integral_constantIbLb0EES19_EEDaS14_S15_EUlS14_E_NS1_11comp_targetILNS1_3genE5ELNS1_11target_archE942ELNS1_3gpuE9ELNS1_3repE0EEENS1_30default_config_static_selectorELNS0_4arch9wavefront6targetE1EEEvT1_,"axG",@progbits,_ZN7rocprim17ROCPRIM_400000_NS6detail17trampoline_kernelINS0_14default_configENS1_25partition_config_selectorILNS1_17partition_subalgoE9EllbEEZZNS1_14partition_implILS5_9ELb0ES3_jPKlN6thrust23THRUST_200600_302600_NS17counting_iteratorIlNSB_11use_defaultESD_SD_EEPNS0_10empty_typeENS0_5tupleIJPlSF_EEENSH_IJSI_SG_EEENS0_18inequality_wrapperIN6hipcub16HIPCUB_304000_NS8EqualityEEESI_JSF_EEE10hipError_tPvRmT3_T4_T5_T6_T7_T9_mT8_P12ihipStream_tbDpT10_ENKUlT_T0_E_clISt17integral_constantIbLb0EES19_EEDaS14_S15_EUlS14_E_NS1_11comp_targetILNS1_3genE5ELNS1_11target_archE942ELNS1_3gpuE9ELNS1_3repE0EEENS1_30default_config_static_selectorELNS0_4arch9wavefront6targetE1EEEvT1_,comdat
	.protected	_ZN7rocprim17ROCPRIM_400000_NS6detail17trampoline_kernelINS0_14default_configENS1_25partition_config_selectorILNS1_17partition_subalgoE9EllbEEZZNS1_14partition_implILS5_9ELb0ES3_jPKlN6thrust23THRUST_200600_302600_NS17counting_iteratorIlNSB_11use_defaultESD_SD_EEPNS0_10empty_typeENS0_5tupleIJPlSF_EEENSH_IJSI_SG_EEENS0_18inequality_wrapperIN6hipcub16HIPCUB_304000_NS8EqualityEEESI_JSF_EEE10hipError_tPvRmT3_T4_T5_T6_T7_T9_mT8_P12ihipStream_tbDpT10_ENKUlT_T0_E_clISt17integral_constantIbLb0EES19_EEDaS14_S15_EUlS14_E_NS1_11comp_targetILNS1_3genE5ELNS1_11target_archE942ELNS1_3gpuE9ELNS1_3repE0EEENS1_30default_config_static_selectorELNS0_4arch9wavefront6targetE1EEEvT1_ ; -- Begin function _ZN7rocprim17ROCPRIM_400000_NS6detail17trampoline_kernelINS0_14default_configENS1_25partition_config_selectorILNS1_17partition_subalgoE9EllbEEZZNS1_14partition_implILS5_9ELb0ES3_jPKlN6thrust23THRUST_200600_302600_NS17counting_iteratorIlNSB_11use_defaultESD_SD_EEPNS0_10empty_typeENS0_5tupleIJPlSF_EEENSH_IJSI_SG_EEENS0_18inequality_wrapperIN6hipcub16HIPCUB_304000_NS8EqualityEEESI_JSF_EEE10hipError_tPvRmT3_T4_T5_T6_T7_T9_mT8_P12ihipStream_tbDpT10_ENKUlT_T0_E_clISt17integral_constantIbLb0EES19_EEDaS14_S15_EUlS14_E_NS1_11comp_targetILNS1_3genE5ELNS1_11target_archE942ELNS1_3gpuE9ELNS1_3repE0EEENS1_30default_config_static_selectorELNS0_4arch9wavefront6targetE1EEEvT1_
	.globl	_ZN7rocprim17ROCPRIM_400000_NS6detail17trampoline_kernelINS0_14default_configENS1_25partition_config_selectorILNS1_17partition_subalgoE9EllbEEZZNS1_14partition_implILS5_9ELb0ES3_jPKlN6thrust23THRUST_200600_302600_NS17counting_iteratorIlNSB_11use_defaultESD_SD_EEPNS0_10empty_typeENS0_5tupleIJPlSF_EEENSH_IJSI_SG_EEENS0_18inequality_wrapperIN6hipcub16HIPCUB_304000_NS8EqualityEEESI_JSF_EEE10hipError_tPvRmT3_T4_T5_T6_T7_T9_mT8_P12ihipStream_tbDpT10_ENKUlT_T0_E_clISt17integral_constantIbLb0EES19_EEDaS14_S15_EUlS14_E_NS1_11comp_targetILNS1_3genE5ELNS1_11target_archE942ELNS1_3gpuE9ELNS1_3repE0EEENS1_30default_config_static_selectorELNS0_4arch9wavefront6targetE1EEEvT1_
	.p2align	8
	.type	_ZN7rocprim17ROCPRIM_400000_NS6detail17trampoline_kernelINS0_14default_configENS1_25partition_config_selectorILNS1_17partition_subalgoE9EllbEEZZNS1_14partition_implILS5_9ELb0ES3_jPKlN6thrust23THRUST_200600_302600_NS17counting_iteratorIlNSB_11use_defaultESD_SD_EEPNS0_10empty_typeENS0_5tupleIJPlSF_EEENSH_IJSI_SG_EEENS0_18inequality_wrapperIN6hipcub16HIPCUB_304000_NS8EqualityEEESI_JSF_EEE10hipError_tPvRmT3_T4_T5_T6_T7_T9_mT8_P12ihipStream_tbDpT10_ENKUlT_T0_E_clISt17integral_constantIbLb0EES19_EEDaS14_S15_EUlS14_E_NS1_11comp_targetILNS1_3genE5ELNS1_11target_archE942ELNS1_3gpuE9ELNS1_3repE0EEENS1_30default_config_static_selectorELNS0_4arch9wavefront6targetE1EEEvT1_,@function
_ZN7rocprim17ROCPRIM_400000_NS6detail17trampoline_kernelINS0_14default_configENS1_25partition_config_selectorILNS1_17partition_subalgoE9EllbEEZZNS1_14partition_implILS5_9ELb0ES3_jPKlN6thrust23THRUST_200600_302600_NS17counting_iteratorIlNSB_11use_defaultESD_SD_EEPNS0_10empty_typeENS0_5tupleIJPlSF_EEENSH_IJSI_SG_EEENS0_18inequality_wrapperIN6hipcub16HIPCUB_304000_NS8EqualityEEESI_JSF_EEE10hipError_tPvRmT3_T4_T5_T6_T7_T9_mT8_P12ihipStream_tbDpT10_ENKUlT_T0_E_clISt17integral_constantIbLb0EES19_EEDaS14_S15_EUlS14_E_NS1_11comp_targetILNS1_3genE5ELNS1_11target_archE942ELNS1_3gpuE9ELNS1_3repE0EEENS1_30default_config_static_selectorELNS0_4arch9wavefront6targetE1EEEvT1_: ; @_ZN7rocprim17ROCPRIM_400000_NS6detail17trampoline_kernelINS0_14default_configENS1_25partition_config_selectorILNS1_17partition_subalgoE9EllbEEZZNS1_14partition_implILS5_9ELb0ES3_jPKlN6thrust23THRUST_200600_302600_NS17counting_iteratorIlNSB_11use_defaultESD_SD_EEPNS0_10empty_typeENS0_5tupleIJPlSF_EEENSH_IJSI_SG_EEENS0_18inequality_wrapperIN6hipcub16HIPCUB_304000_NS8EqualityEEESI_JSF_EEE10hipError_tPvRmT3_T4_T5_T6_T7_T9_mT8_P12ihipStream_tbDpT10_ENKUlT_T0_E_clISt17integral_constantIbLb0EES19_EEDaS14_S15_EUlS14_E_NS1_11comp_targetILNS1_3genE5ELNS1_11target_archE942ELNS1_3gpuE9ELNS1_3repE0EEENS1_30default_config_static_selectorELNS0_4arch9wavefront6targetE1EEEvT1_
; %bb.0:
	s_load_dwordx2 s[12:13], s[0:1], 0x50
	s_load_dwordx4 s[20:23], s[0:1], 0x40
	s_load_dwordx4 s[4:7], s[0:1], 0x8
	s_load_dwordx2 s[8:9], s[0:1], 0x18
	s_load_dword s3, s[0:1], 0x68
	s_waitcnt lgkmcnt(0)
	v_mov_b32_e32 v3, s13
	v_mov_b32_e32 v2, s12
	s_lshl_b64 s[10:11], s[6:7], 3
	s_add_u32 s16, s4, s10
	s_mul_i32 s4, s3, 0xe00
	s_addc_u32 s17, s5, s11
	s_add_i32 s13, s3, -1
	s_add_i32 s3, s4, s6
	s_sub_i32 s3, s12, s3
	s_add_u32 s4, s6, s4
	s_addc_u32 s5, s7, 0
	s_cmp_eq_u32 s2, s13
	s_load_dwordx2 s[18:19], s[22:23], 0x0
	v_cmp_ge_u64_e32 vcc, s[4:5], v[2:3]
	s_cselect_b64 s[22:23], -1, 0
	s_mul_i32 s10, s2, 0xe00
	s_mov_b32 s11, 0
	s_and_b64 s[14:15], s[22:23], vcc
	s_xor_b64 s[28:29], s[14:15], -1
	s_lshl_b64 s[4:5], s[10:11], 3
	s_add_u32 s4, s16, s4
	s_mov_b64 s[12:13], -1
	s_addc_u32 s5, s17, s5
	s_and_b64 vcc, exec, s[28:29]
	s_cbranch_vccz .LBB45_2
; %bb.1:
	v_mov_b32_e32 v1, 0
	v_lshlrev_b32_e32 v2, 3, v0
	v_mov_b32_e32 v3, v1
	v_lshl_add_u64 v[4:5], s[4:5], 0, v[2:3]
	v_add_co_u32_e32 v8, vcc, 0x1000, v4
	global_load_dwordx2 v[6:7], v2, s[4:5]
	s_nop 0
	v_addc_co_u32_e32 v9, vcc, 0, v5, vcc
	v_add_co_u32_e32 v10, vcc, 0x2000, v4
	s_mov_b64 s[12:13], 0
	s_nop 0
	v_addc_co_u32_e32 v11, vcc, 0, v5, vcc
	v_add_co_u32_e32 v12, vcc, 0x3000, v4
	s_nop 1
	v_addc_co_u32_e32 v13, vcc, 0, v5, vcc
	v_add_co_u32_e32 v14, vcc, 0x4000, v4
	s_nop 1
	v_addc_co_u32_e32 v15, vcc, 0, v5, vcc
	global_load_dwordx2 v[16:17], v[8:9], off
	global_load_dwordx2 v[18:19], v[10:11], off
	global_load_dwordx2 v[20:21], v[12:13], off
	global_load_dwordx2 v[22:23], v[14:15], off
	v_add_co_u32_e32 v8, vcc, 0x5000, v4
	s_nop 1
	v_addc_co_u32_e32 v9, vcc, 0, v5, vcc
	v_add_co_u32_e32 v4, vcc, 0x6000, v4
	global_load_dwordx2 v[8:9], v[8:9], off
	s_nop 0
	v_addc_co_u32_e32 v5, vcc, 0, v5, vcc
	global_load_dwordx2 v[4:5], v[4:5], off
	s_waitcnt vmcnt(5)
	ds_write2st64_b64 v2, v[6:7], v[16:17] offset1:8
	s_waitcnt vmcnt(3)
	ds_write2st64_b64 v2, v[18:19], v[20:21] offset0:16 offset1:24
	s_waitcnt vmcnt(1)
	ds_write2st64_b64 v2, v[22:23], v[8:9] offset0:32 offset1:40
	s_waitcnt vmcnt(0)
	ds_write_b64 v2, v[4:5] offset:24576
	s_waitcnt lgkmcnt(0)
	s_barrier
.LBB45_2:
	s_load_dwordx2 s[30:31], s[0:1], 0x60
	s_andn2_b64 vcc, exec, s[12:13]
	s_addk_i32 s3, 0xe00
	s_cbranch_vccnz .LBB45_18
; %bb.3:
	v_cmp_gt_u32_e32 vcc, s3, v0
                                        ; implicit-def: $vgpr2_vgpr3_vgpr4_vgpr5_vgpr6_vgpr7_vgpr8_vgpr9_vgpr10_vgpr11_vgpr12_vgpr13_vgpr14_vgpr15_vgpr16_vgpr17
	s_and_saveexec_b64 s[12:13], vcc
	s_cbranch_execz .LBB45_5
; %bb.4:
	v_lshlrev_b32_e32 v1, 3, v0
	global_load_dwordx2 v[2:3], v1, s[4:5]
.LBB45_5:
	s_or_b64 exec, exec, s[12:13]
	v_or_b32_e32 v1, 0x200, v0
	v_cmp_gt_u32_e32 vcc, s3, v1
	s_and_saveexec_b64 s[12:13], vcc
	s_cbranch_execz .LBB45_7
; %bb.6:
	v_lshlrev_b32_e32 v1, 3, v1
	global_load_dwordx2 v[4:5], v1, s[4:5]
.LBB45_7:
	s_or_b64 exec, exec, s[12:13]
	v_or_b32_e32 v1, 0x400, v0
	v_cmp_gt_u32_e32 vcc, s3, v1
	s_and_saveexec_b64 s[12:13], vcc
	s_cbranch_execz .LBB45_9
; %bb.8:
	v_lshlrev_b32_e32 v1, 3, v1
	global_load_dwordx2 v[6:7], v1, s[4:5]
.LBB45_9:
	s_or_b64 exec, exec, s[12:13]
	v_or_b32_e32 v1, 0x600, v0
	v_cmp_gt_u32_e32 vcc, s3, v1
	s_and_saveexec_b64 s[12:13], vcc
	s_cbranch_execz .LBB45_11
; %bb.10:
	v_lshlrev_b32_e32 v1, 3, v1
	global_load_dwordx2 v[8:9], v1, s[4:5]
.LBB45_11:
	s_or_b64 exec, exec, s[12:13]
	v_or_b32_e32 v1, 0x800, v0
	v_cmp_gt_u32_e32 vcc, s3, v1
	s_and_saveexec_b64 s[12:13], vcc
	s_cbranch_execz .LBB45_13
; %bb.12:
	v_lshlrev_b32_e32 v1, 3, v1
	global_load_dwordx2 v[10:11], v1, s[4:5]
.LBB45_13:
	s_or_b64 exec, exec, s[12:13]
	v_or_b32_e32 v1, 0xa00, v0
	v_cmp_gt_u32_e32 vcc, s3, v1
	s_and_saveexec_b64 s[12:13], vcc
	s_cbranch_execz .LBB45_15
; %bb.14:
	v_lshlrev_b32_e32 v1, 3, v1
	global_load_dwordx2 v[12:13], v1, s[4:5]
.LBB45_15:
	s_or_b64 exec, exec, s[12:13]
	v_or_b32_e32 v1, 0xc00, v0
	v_cmp_gt_u32_e32 vcc, s3, v1
	s_and_saveexec_b64 s[12:13], vcc
	s_cbranch_execz .LBB45_17
; %bb.16:
	v_lshlrev_b32_e32 v1, 3, v1
	global_load_dwordx2 v[14:15], v1, s[4:5]
.LBB45_17:
	s_or_b64 exec, exec, s[12:13]
	v_lshlrev_b32_e32 v1, 3, v0
	s_waitcnt vmcnt(0)
	ds_write2st64_b64 v1, v[2:3], v[4:5] offset1:8
	ds_write2st64_b64 v1, v[6:7], v[8:9] offset0:16 offset1:24
	ds_write2st64_b64 v1, v[10:11], v[12:13] offset0:32 offset1:40
	ds_write_b64 v1, v[14:15] offset:24576
	v_mov_b32_e32 v1, 0
	s_waitcnt lgkmcnt(0)
	s_barrier
.LBB45_18:
	v_mul_u32_u24_e32 v32, 7, v0
	v_lshlrev_b32_e32 v40, 3, v32
	s_waitcnt lgkmcnt(0)
	ds_read2_b64 v[22:25], v40 offset1:1
	ds_read2_b64 v[18:21], v40 offset0:2 offset1:3
	ds_read2_b64 v[14:17], v40 offset0:4 offset1:5
	ds_read_b64 v[28:29], v40 offset:48
	s_load_dwordx4 s[24:27], s[0:1], 0x28
	s_add_u32 s0, s6, s10
	s_addc_u32 s1, s7, 0
	s_add_u32 s0, s0, s8
	s_addc_u32 s1, s1, s9
	v_lshl_add_u64 v[2:3], v[0:1], 0, s[0:1]
	s_mov_b64 s[8:9], -1
	s_and_b64 vcc, exec, s[28:29]
	s_waitcnt lgkmcnt(0)
	s_barrier
	s_cbranch_vccz .LBB45_20
; %bb.19:
	s_mov_b64 s[8:9], 0x200
	v_lshl_add_u64 v[4:5], v[2:3], 0, s[8:9]
	s_mov_b64 s[8:9], 0x400
	v_lshl_add_u64 v[6:7], v[2:3], 0, s[8:9]
	;; [unrolled: 2-line block ×5, first 2 shown]
	s_mov_b64 s[8:9], 0xc00
	v_lshlrev_b32_e32 v1, 3, v0
	v_lshl_add_u64 v[26:27], v[2:3], 0, s[8:9]
	ds_write2st64_b64 v1, v[2:3], v[4:5] offset1:8
	ds_write2st64_b64 v1, v[6:7], v[8:9] offset0:16 offset1:24
	ds_write2st64_b64 v1, v[10:11], v[12:13] offset0:32 offset1:40
	ds_write_b64 v1, v[26:27] offset:24576
	s_waitcnt lgkmcnt(0)
	s_barrier
	s_mov_b64 s[8:9], 0
.LBB45_20:
	s_andn2_b64 vcc, exec, s[8:9]
	s_cbranch_vccnz .LBB45_22
; %bb.21:
	v_or_b32_e32 v4, 0x200, v0
	v_mov_b32_e32 v5, 0
	v_lshl_add_u64 v[6:7], s[0:1], 0, v[4:5]
	v_or_b32_e32 v4, 0x400, v0
	v_lshl_add_u64 v[8:9], s[0:1], 0, v[4:5]
	v_or_b32_e32 v4, 0x600, v0
	;; [unrolled: 2-line block ×5, first 2 shown]
	v_lshl_add_u64 v[4:5], s[0:1], 0, v[4:5]
	s_movk_i32 s0, 0xffd0
	v_mad_i32_i24 v1, v0, s0, v40
	ds_write2st64_b64 v1, v[2:3], v[6:7] offset1:8
	ds_write2st64_b64 v1, v[8:9], v[10:11] offset0:16 offset1:24
	ds_write2st64_b64 v1, v[12:13], v[26:27] offset0:32 offset1:40
	ds_write_b64 v1, v[4:5] offset:24576
	s_waitcnt lgkmcnt(0)
	s_barrier
.LBB45_22:
	ds_read2_b64 v[10:13], v40 offset1:1
	ds_read2_b64 v[6:9], v40 offset0:2 offset1:3
	ds_read2_b64 v[2:5], v40 offset0:4 offset1:5
	ds_read_b64 v[26:27], v40 offset:48
	s_cmp_lg_u32 s2, 0
	s_cselect_b64 s[34:35], -1, 0
	s_cmp_lg_u64 s[6:7], 0
	s_cselect_b64 s[0:1], -1, 0
	s_or_b64 s[0:1], s[34:35], s[0:1]
	v_add_u32_e32 v35, 1, v32
	v_add_u32_e32 v1, 2, v32
	;; [unrolled: 1-line block ×6, first 2 shown]
	s_mov_b64 s[16:17], 0
	s_and_b64 vcc, exec, s[0:1]
	s_waitcnt lgkmcnt(0)
	s_barrier
	s_cbranch_vccz .LBB45_27
; %bb.23:
	s_add_u32 s0, s4, -8
	s_addc_u32 s1, s5, -1
	s_load_dwordx2 s[4:5], s[0:1], 0x0
	v_lshlrev_b32_e32 v43, 3, v0
	s_and_b64 vcc, exec, s[28:29]
	ds_write_b64 v43, v[28:29]
	s_cbranch_vccz .LBB45_29
; %bb.24:
	v_cmp_ne_u32_e32 vcc, 0, v0
	s_waitcnt lgkmcnt(0)
	v_mov_b64_e32 v[30:31], s[4:5]
	s_barrier
	s_and_saveexec_b64 s[0:1], vcc
	s_cbranch_execz .LBB45_26
; %bb.25:
	v_add_u32_e32 v30, -8, v43
	ds_read_b64 v[30:31], v30
.LBB45_26:
	s_or_b64 exec, exec, s[0:1]
	v_cmp_ne_u64_e32 vcc, v[16:17], v[28:29]
	s_waitcnt lgkmcnt(0)
	v_cmp_ne_u64_e64 s[0:1], v[30:31], v[22:23]
	v_cndmask_b32_e64 v41, 0, 1, vcc
	v_cmp_ne_u64_e32 vcc, v[14:15], v[16:17]
	s_nop 1
	v_cndmask_b32_e64 v38, 0, 1, vcc
	v_cmp_ne_u64_e32 vcc, v[20:21], v[14:15]
	s_nop 1
	;; [unrolled: 3-line block ×3, first 2 shown]
	v_cndmask_b32_e64 v42, 0, 1, vcc
	v_cmp_ne_u64_e32 vcc, v[24:25], v[18:19]
	v_lshlrev_b16_e32 v30, 8, v42
	s_nop 0
	v_cndmask_b32_e64 v44, 0, 1, vcc
	v_cmp_ne_u64_e32 vcc, v[22:23], v[24:25]
	v_or_b32_sdwa v30, v44, v30 dst_sel:WORD_1 dst_unused:UNUSED_PAD src0_sel:DWORD src1_sel:DWORD
	s_nop 0
	v_cndmask_b32_e64 v45, 0, 1, vcc
	v_lshlrev_b16_e32 v31, 8, v45
	v_or_b32_e32 v42, v31, v30
	s_branch .LBB45_33
.LBB45_27:
                                        ; implicit-def: $sgpr0_sgpr1
                                        ; implicit-def: $vgpr41
                                        ; implicit-def: $vgpr38
                                        ; implicit-def: $vgpr39
                                        ; implicit-def: $vgpr42
	s_branch .LBB45_34
.LBB45_28:
                                        ; implicit-def: $vgpr30_vgpr31
	s_and_saveexec_b64 s[4:5], s[16:17]
	s_cbranch_execnz .LBB45_42
	s_branch .LBB45_43
.LBB45_29:
                                        ; implicit-def: $sgpr0_sgpr1
                                        ; implicit-def: $vgpr41
                                        ; implicit-def: $vgpr38
                                        ; implicit-def: $vgpr39
                                        ; implicit-def: $vgpr42
	s_cbranch_execz .LBB45_33
; %bb.30:
	v_cmp_ne_u32_e32 vcc, 0, v0
	s_waitcnt lgkmcnt(0)
	v_mov_b64_e32 v[30:31], s[4:5]
	s_barrier
	s_and_saveexec_b64 s[0:1], vcc
	s_cbranch_execz .LBB45_32
; %bb.31:
	v_add_u32_e32 v30, -8, v43
	ds_read_b64 v[30:31], v30
.LBB45_32:
	s_or_b64 exec, exec, s[0:1]
	v_cmp_gt_u32_e32 vcc, s3, v34
	v_cmp_ne_u64_e64 s[0:1], v[16:17], v[28:29]
	s_and_b64 s[0:1], vcc, s[0:1]
	v_cmp_gt_u32_e32 vcc, s3, v37
	v_cndmask_b32_e64 v41, 0, 1, s[0:1]
	v_cmp_ne_u64_e64 s[0:1], v[14:15], v[16:17]
	s_and_b64 s[0:1], vcc, s[0:1]
	v_cmp_gt_u32_e32 vcc, s3, v33
	v_cndmask_b32_e64 v38, 0, 1, s[0:1]
	;; [unrolled: 4-line block ×6, first 2 shown]
	s_waitcnt lgkmcnt(0)
	v_cmp_ne_u64_e64 s[0:1], v[30:31], v[22:23]
	v_lshlrev_b16_e32 v30, 8, v42
	v_or_b32_sdwa v30, v43, v30 dst_sel:WORD_1 dst_unused:UNUSED_PAD src0_sel:DWORD src1_sel:DWORD
	v_lshlrev_b16_e32 v31, 8, v44
	s_and_b64 s[0:1], vcc, s[0:1]
	v_or_b32_e32 v42, v31, v30
.LBB45_33:
	s_waitcnt lgkmcnt(0)
	s_mov_b64 s[16:17], -1
	s_cbranch_execnz .LBB45_28
.LBB45_34:
	s_movk_i32 s0, 0xffd0
	v_mad_i32_i24 v40, v0, s0, v40
	s_and_b64 vcc, exec, s[28:29]
	v_cmp_ne_u64_e64 s[0:1], v[16:17], v[28:29]
	v_cmp_ne_u64_e64 s[12:13], v[14:15], v[16:17]
	;; [unrolled: 1-line block ×6, first 2 shown]
	ds_write_b64 v40, v[28:29]
	s_cbranch_vccz .LBB45_38
; %bb.35:
	v_cndmask_b32_e64 v38, 0, 1, s[12:13]
	v_cndmask_b32_e64 v30, 0, 1, s[6:7]
	;; [unrolled: 1-line block ×5, first 2 shown]
	v_lshlrev_b16_e32 v31, 8, v38
	v_lshlrev_b16_e32 v30, 8, v30
	v_or_b32_e32 v31, v39, v31
	v_or_b32_sdwa v30, v42, v30 dst_sel:WORD_1 dst_unused:UNUSED_PAD src0_sel:DWORD src1_sel:DWORD
	v_lshlrev_b16_e32 v42, 8, v43
	v_and_b32_e32 v31, 0xffff, v31
	v_cndmask_b32_e64 v41, 0, 1, s[0:1]
	v_or_b32_e32 v42, 1, v42
	v_lshl_or_b32 v31, v41, 16, v31
	v_or_b32_sdwa v30, v42, v30 dst_sel:DWORD dst_unused:UNUSED_PAD src0_sel:WORD_0 src1_sel:DWORD
	v_cmp_ne_u32_e32 vcc, 0, v0
	s_waitcnt lgkmcnt(0)
	s_barrier
	s_waitcnt lgkmcnt(0)
                                        ; implicit-def: $sgpr0_sgpr1
                                        ; implicit-def: $vgpr42
	s_and_saveexec_b64 s[4:5], vcc
	s_xor_b64 s[4:5], exec, s[4:5]
	s_cbranch_execz .LBB45_37
; %bb.36:
	v_add_u32_e32 v31, -8, v40
	ds_read_b64 v[44:45], v31
	s_mov_b32 s0, 0x3020104
	v_perm_b32 v42, v30, v30, s0
	s_or_b64 s[16:17], s[16:17], exec
                                        ; implicit-def: $vgpr30_vgpr31
	s_waitcnt lgkmcnt(0)
	v_cmp_ne_u64_e32 vcc, v[44:45], v[22:23]
	s_and_b64 s[0:1], vcc, exec
.LBB45_37:
	s_or_b64 exec, exec, s[4:5]
	s_branch .LBB45_41
.LBB45_38:
                                        ; implicit-def: $sgpr0_sgpr1
                                        ; implicit-def: $vgpr41
                                        ; implicit-def: $vgpr38
                                        ; implicit-def: $vgpr39
                                        ; implicit-def: $vgpr42
                                        ; implicit-def: $vgpr30_vgpr31
	s_cbranch_execz .LBB45_41
; %bb.39:
	v_cmp_gt_u32_e64 s[4:5], s3, v37
	v_cmp_ne_u64_e64 s[6:7], v[14:15], v[16:17]
	s_and_b64 s[4:5], s[4:5], s[6:7]
	v_cndmask_b32_e64 v38, 0, 1, s[4:5]
	v_cmp_gt_u32_e64 s[4:5], s3, v33
	v_cmp_ne_u64_e64 s[6:7], v[20:21], v[14:15]
	s_and_b64 s[4:5], s[4:5], s[6:7]
	v_cndmask_b32_e64 v39, 0, 1, s[4:5]
	v_cmp_gt_u32_e64 s[4:5], s3, v36
	v_cmp_ne_u64_e64 s[6:7], v[18:19], v[20:21]
	s_and_b64 s[4:5], s[4:5], s[6:7]
	v_cndmask_b32_e64 v30, 0, 1, s[4:5]
	v_cmp_gt_u32_e64 s[4:5], s3, v1
	v_cmp_ne_u64_e64 s[6:7], v[24:25], v[18:19]
	s_and_b64 s[4:5], s[4:5], s[6:7]
	v_cndmask_b32_e64 v42, 0, 1, s[4:5]
	v_cmp_gt_u32_e64 s[4:5], s3, v35
	v_cmp_ne_u64_e64 s[6:7], v[22:23], v[24:25]
	s_and_b64 s[4:5], s[4:5], s[6:7]
	v_cmp_gt_u32_e32 vcc, s3, v34
	v_cmp_ne_u64_e64 s[0:1], v[16:17], v[28:29]
	v_cndmask_b32_e64 v43, 0, 1, s[4:5]
	v_lshlrev_b16_e32 v31, 8, v38
	v_lshlrev_b16_e32 v30, 8, v30
	v_or_b32_e32 v31, v39, v31
	s_and_b64 s[0:1], vcc, s[0:1]
	v_or_b32_sdwa v30, v42, v30 dst_sel:WORD_1 dst_unused:UNUSED_PAD src0_sel:DWORD src1_sel:DWORD
	v_lshlrev_b16_e32 v42, 8, v43
	v_and_b32_e32 v31, 0xffff, v31
	v_cndmask_b32_e64 v41, 0, 1, s[0:1]
	v_or_b32_e32 v42, 1, v42
	v_lshl_or_b32 v31, v41, 16, v31
	v_or_b32_sdwa v30, v42, v30 dst_sel:DWORD dst_unused:UNUSED_PAD src0_sel:WORD_0 src1_sel:DWORD
	v_cmp_ne_u32_e32 vcc, 0, v0
	s_waitcnt lgkmcnt(0)
	s_barrier
	s_waitcnt lgkmcnt(0)
                                        ; implicit-def: $sgpr0_sgpr1
                                        ; implicit-def: $vgpr42
	s_and_saveexec_b64 s[4:5], vcc
	s_cbranch_execz .LBB45_169
; %bb.40:
	v_add_u32_e32 v31, -8, v40
	ds_read_b64 v[44:45], v31
	s_mov_b32 s0, 0x3020104
	v_cmp_gt_u32_e32 vcc, s3, v32
	v_perm_b32 v42, v30, v30, s0
	s_or_b64 s[16:17], s[16:17], exec
	s_waitcnt lgkmcnt(0)
	v_cmp_ne_u64_e64 s[0:1], v[44:45], v[22:23]
	s_and_b64 s[0:1], vcc, s[0:1]
	s_and_b64 s[0:1], s[0:1], exec
                                        ; implicit-def: $vgpr30_vgpr31
	s_or_b64 exec, exec, s[4:5]
.LBB45_41:
	s_and_saveexec_b64 s[4:5], s[16:17]
	s_cbranch_execz .LBB45_43
.LBB45_42:
	v_lshlrev_b16_e32 v31, 8, v38
	v_and_b32_e32 v38, 0xff, v41
	v_or_b32_sdwa v31, v39, v31 dst_sel:DWORD dst_unused:UNUSED_PAD src0_sel:BYTE_0 src1_sel:DWORD
	v_lshlrev_b32_e32 v38, 16, v38
	v_cndmask_b32_e64 v30, 0, 1, s[0:1]
	s_movk_i32 s0, 0xff
	v_or_b32_sdwa v31, v31, v38 dst_sel:DWORD dst_unused:UNUSED_PAD src0_sel:WORD_0 src1_sel:DWORD
	v_lshrrev_b32_e32 v38, 24, v42
	v_lshlrev_b16_e32 v38, 8, v38
	v_and_b32_sdwa v39, v42, s0 dst_sel:DWORD dst_unused:UNUSED_PAD src0_sel:WORD_1 src1_sel:DWORD
	v_or_b32_sdwa v38, v39, v38 dst_sel:WORD_1 dst_unused:UNUSED_PAD src0_sel:DWORD src1_sel:DWORD
	v_mov_b32_e32 v39, 8
	v_lshrrev_b32_sdwa v39, v39, v42 dst_sel:BYTE_1 dst_unused:UNUSED_PAD src0_sel:DWORD src1_sel:DWORD
	s_nop 0
	v_or_b32_e32 v30, v30, v39
	v_or_b32_sdwa v30, v30, v38 dst_sel:DWORD dst_unused:UNUSED_PAD src0_sel:WORD_0 src1_sel:DWORD
.LBB45_43:
	s_or_b64 exec, exec, s[4:5]
	s_andn2_b64 vcc, exec, s[14:15]
	s_cbranch_vccnz .LBB45_45
; %bb.44:
	v_and_b32_e32 v38, 0xffff0000, v30
	v_cmp_gt_u32_e32 vcc, s3, v32
	s_mov_b32 s0, 0x40c0100
	s_nop 0
	v_cndmask_b32_e32 v32, v38, v30, vcc
	v_and_b32_e32 v32, 0xffff00ff, v32
	v_cmp_gt_u32_e32 vcc, s3, v35
	s_nop 1
	v_cndmask_b32_e32 v32, v32, v30, vcc
	v_lshrrev_b32_e32 v35, 24, v32
	v_perm_b32 v32, v35, v32, s0
	v_cmp_gt_u32_e32 vcc, s3, v1
	s_nop 1
	v_cndmask_b32_e32 v1, v32, v30, vcc
	v_and_b32_e32 v1, 0xffffff, v1
	v_cmp_gt_u32_e32 vcc, s3, v36
	v_and_b32_e32 v32, 0xffffff00, v31
	s_nop 0
	v_cndmask_b32_e32 v1, v1, v30, vcc
	v_cmp_gt_u32_e32 vcc, s3, v33
	s_nop 1
	v_cndmask_b32_e32 v32, v32, v31, vcc
	v_and_b32_e32 v32, 0xffff00ff, v32
	v_cndmask_b32_e32 v1, v1, v30, vcc
	v_cmp_gt_u32_e32 vcc, s3, v37
	s_nop 1
	v_cndmask_b32_e32 v32, v32, v31, vcc
	v_lshrrev_b32_e32 v33, 24, v32
	v_cndmask_b32_e32 v1, v1, v30, vcc
	v_perm_b32 v32, v33, v32, s0
	v_cmp_gt_u32_e32 vcc, s3, v34
	s_mov_b32 s0, 0x3020104
	s_nop 0
	v_cndmask_b32_e32 v1, v1, v30, vcc
	v_cndmask_b32_e32 v30, v32, v31, vcc
	v_mov_b32_e32 v31, 8
	v_lshrrev_b32_sdwa v31, v31, v30 dst_sel:BYTE_1 dst_unused:UNUSED_PAD src0_sel:DWORD src1_sel:DWORD
	s_nop 0
	v_or_b32_sdwa v31, v30, v31 dst_sel:DWORD dst_unused:UNUSED_PAD src0_sel:BYTE_0 src1_sel:DWORD
	v_and_b32_e32 v31, 0xffff, v31
	v_bfe_u32 v30, v30, 16, 8
	v_lshl_or_b32 v31, v30, 16, v31
	v_perm_b32 v30, v1, v1, s0
.LBB45_45:
	v_and_b32_e32 v1, 0xff, v30
	v_bfe_u32 v43, v30, 8, 8
	v_bfe_u32 v45, v30, 16, 8
	v_alignbit_b32 v32, v31, v30, 24
	v_and_b32_e32 v47, 0xff, v32
	v_and_b32_e32 v48, 0xff, v31
	v_add3_u32 v33, v43, v1, v45
	v_bfe_u32 v49, v31, 8, 8
	v_bfe_u32 v32, v31, 16, 8
	v_add3_u32 v33, v33, v47, v48
	v_add3_u32 v52, v33, v49, v32
	v_mbcnt_lo_u32_b32 v32, -1, 0
	v_mbcnt_hi_u32_b32 v50, -1, v32
	v_and_b32_e32 v32, 15, v50
	v_cmp_eq_u32_e64 s[12:13], 0, v32
	v_cmp_lt_u32_e64 s[10:11], 1, v32
	v_cmp_lt_u32_e64 s[8:9], 3, v32
	;; [unrolled: 1-line block ×3, first 2 shown]
	v_and_b32_e32 v32, 16, v50
	v_cmp_eq_u32_e64 s[4:5], 0, v32
	v_or_b32_e32 v32, 63, v0
	v_cmp_lt_u32_e64 s[0:1], 31, v50
	v_lshrrev_b32_e32 v51, 6, v0
	v_cmp_eq_u32_e64 s[16:17], v32, v0
	s_and_b64 vcc, exec, s[34:35]
	s_waitcnt lgkmcnt(0)
	s_barrier
	s_cbranch_vccz .LBB45_72
; %bb.46:
	v_mov_b32_dpp v32, v52 row_shr:1 row_mask:0xf bank_mask:0xf
	v_cndmask_b32_e64 v32, v32, 0, s[12:13]
	v_add_u32_e32 v32, v32, v52
	s_nop 1
	v_mov_b32_dpp v33, v32 row_shr:2 row_mask:0xf bank_mask:0xf
	v_cndmask_b32_e64 v33, 0, v33, s[10:11]
	v_add_u32_e32 v32, v32, v33
	s_nop 1
	;; [unrolled: 4-line block ×4, first 2 shown]
	v_mov_b32_dpp v33, v32 row_bcast:15 row_mask:0xf bank_mask:0xf
	v_cndmask_b32_e64 v33, v33, 0, s[4:5]
	v_add_u32_e32 v32, v32, v33
	s_nop 1
	v_mov_b32_dpp v33, v32 row_bcast:31 row_mask:0xf bank_mask:0xf
	v_cndmask_b32_e64 v33, 0, v33, s[0:1]
	v_add_u32_e32 v32, v32, v33
	s_and_saveexec_b64 s[14:15], s[16:17]
	s_cbranch_execz .LBB45_48
; %bb.47:
	v_lshlrev_b32_e32 v33, 2, v51
	ds_write_b32 v33, v32
.LBB45_48:
	s_or_b64 exec, exec, s[14:15]
	v_cmp_gt_u32_e32 vcc, 8, v0
	s_waitcnt lgkmcnt(0)
	s_barrier
	s_and_saveexec_b64 s[14:15], vcc
	s_cbranch_execz .LBB45_50
; %bb.49:
	v_lshlrev_b32_e32 v33, 2, v0
	ds_read_b32 v34, v33
	v_and_b32_e32 v35, 7, v50
	v_cmp_ne_u32_e32 vcc, 0, v35
	s_waitcnt lgkmcnt(0)
	v_mov_b32_dpp v36, v34 row_shr:1 row_mask:0xf bank_mask:0xf
	v_cndmask_b32_e32 v36, 0, v36, vcc
	v_add_u32_e32 v34, v36, v34
	v_cmp_lt_u32_e32 vcc, 1, v35
	s_nop 0
	v_mov_b32_dpp v36, v34 row_shr:2 row_mask:0xf bank_mask:0xf
	v_cndmask_b32_e32 v36, 0, v36, vcc
	v_add_u32_e32 v34, v34, v36
	v_cmp_lt_u32_e32 vcc, 3, v35
	s_nop 0
	v_mov_b32_dpp v36, v34 row_shr:4 row_mask:0xf bank_mask:0xf
	v_cndmask_b32_e32 v35, 0, v36, vcc
	v_add_u32_e32 v34, v34, v35
	ds_write_b32 v33, v34
.LBB45_50:
	s_or_b64 exec, exec, s[14:15]
	v_cmp_gt_u32_e32 vcc, 64, v0
	v_cmp_lt_u32_e64 s[14:15], 63, v0
	s_waitcnt lgkmcnt(0)
	s_barrier
	s_waitcnt lgkmcnt(0)
                                        ; implicit-def: $vgpr42
	s_and_saveexec_b64 s[34:35], s[14:15]
	s_cbranch_execz .LBB45_52
; %bb.51:
	v_lshl_add_u32 v33, v51, 2, -4
	ds_read_b32 v42, v33
	s_waitcnt lgkmcnt(0)
	v_add_u32_e32 v32, v42, v32
.LBB45_52:
	s_or_b64 exec, exec, s[34:35]
	v_add_u32_e32 v33, -1, v50
	v_and_b32_e32 v34, 64, v50
	v_cmp_lt_i32_e64 s[14:15], v33, v34
	s_nop 1
	v_cndmask_b32_e64 v33, v33, v50, s[14:15]
	v_lshlrev_b32_e32 v33, 2, v33
	ds_bpermute_b32 v44, v33, v32
	v_cmp_eq_u32_e64 s[14:15], 0, v50
	s_and_saveexec_b64 s[34:35], vcc
	s_cbranch_execz .LBB45_71
; %bb.53:
	v_mov_b32_e32 v39, 0
	ds_read_b32 v32, v39 offset:28
	s_and_saveexec_b64 s[36:37], s[14:15]
	s_cbranch_execz .LBB45_55
; %bb.54:
	s_add_i32 s38, s2, 64
	s_mov_b32 s39, 0
	s_lshl_b64 s[38:39], s[38:39], 3
	s_add_u32 s38, s30, s38
	v_mov_b32_e32 v33, 1
	s_addc_u32 s39, s31, s39
	s_waitcnt lgkmcnt(0)
	global_store_dwordx2 v39, v[32:33], s[38:39] sc1
.LBB45_55:
	s_or_b64 exec, exec, s[36:37]
	v_xad_u32 v34, v50, -1, s2
	v_add_u32_e32 v38, 64, v34
	v_lshl_add_u64 v[40:41], v[38:39], 3, s[30:31]
	global_load_dwordx2 v[36:37], v[40:41], off sc1
	s_waitcnt vmcnt(0)
	v_cmp_eq_u16_sdwa s[38:39], v37, v39 src0_sel:BYTE_0 src1_sel:DWORD
	s_and_saveexec_b64 s[36:37], s[38:39]
	s_cbranch_execz .LBB45_59
; %bb.56:
	s_mov_b64 s[38:39], 0
	v_mov_b32_e32 v33, 0
.LBB45_57:                              ; =>This Inner Loop Header: Depth=1
	global_load_dwordx2 v[36:37], v[40:41], off sc1
	s_waitcnt vmcnt(0)
	v_cmp_ne_u16_sdwa s[40:41], v37, v33 src0_sel:BYTE_0 src1_sel:DWORD
	s_or_b64 s[38:39], s[40:41], s[38:39]
	s_andn2_b64 exec, exec, s[38:39]
	s_cbranch_execnz .LBB45_57
; %bb.58:
	s_or_b64 exec, exec, s[38:39]
.LBB45_59:
	s_or_b64 exec, exec, s[36:37]
	v_and_b32_e32 v53, 63, v50
	v_mov_b32_e32 v46, 2
	v_cmp_ne_u32_e32 vcc, 63, v53
	v_cmp_eq_u16_sdwa s[36:37], v37, v46 src0_sel:BYTE_0 src1_sel:DWORD
	v_lshlrev_b64 v[38:39], v50, -1
	v_addc_co_u32_e32 v40, vcc, 0, v50, vcc
	v_and_b32_e32 v33, s37, v39
	v_lshlrev_b32_e32 v54, 2, v40
	v_or_b32_e32 v33, 0x80000000, v33
	ds_bpermute_b32 v40, v54, v36
	v_and_b32_e32 v35, s36, v38
	v_ffbl_b32_e32 v33, v33
	v_add_u32_e32 v33, 32, v33
	v_ffbl_b32_e32 v35, v35
	v_min_u32_e32 v33, v35, v33
	v_cmp_lt_u32_e32 vcc, v53, v33
	v_add_u32_e32 v56, 2, v53
	v_add_u32_e32 v58, 4, v53
	s_waitcnt lgkmcnt(0)
	v_cndmask_b32_e32 v35, 0, v40, vcc
	v_cmp_gt_u32_e32 vcc, 62, v53
	v_add_u32_e32 v35, v35, v36
	v_add_u32_e32 v60, 8, v53
	v_cndmask_b32_e64 v36, 0, 1, vcc
	v_lshlrev_b32_e32 v36, 1, v36
	v_add_lshl_u32 v55, v36, v50, 2
	ds_bpermute_b32 v36, v55, v35
	v_cmp_le_u32_e32 vcc, v56, v33
	v_add_u32_e32 v62, 16, v53
	v_add_u32_e32 v64, 32, v53
	s_waitcnt lgkmcnt(0)
	v_cndmask_b32_e32 v36, 0, v36, vcc
	v_cmp_gt_u32_e32 vcc, 60, v53
	v_add_u32_e32 v35, v35, v36
	s_nop 0
	v_cndmask_b32_e64 v36, 0, 1, vcc
	v_lshlrev_b32_e32 v36, 2, v36
	v_add_lshl_u32 v57, v36, v50, 2
	ds_bpermute_b32 v36, v57, v35
	v_cmp_le_u32_e32 vcc, v58, v33
	s_waitcnt lgkmcnt(0)
	s_nop 0
	v_cndmask_b32_e32 v36, 0, v36, vcc
	v_cmp_gt_u32_e32 vcc, 56, v53
	v_add_u32_e32 v35, v35, v36
	s_nop 0
	v_cndmask_b32_e64 v36, 0, 1, vcc
	v_lshlrev_b32_e32 v36, 3, v36
	v_add_lshl_u32 v59, v36, v50, 2
	ds_bpermute_b32 v36, v59, v35
	v_cmp_le_u32_e32 vcc, v60, v33
	s_waitcnt lgkmcnt(0)
	s_nop 0
	;; [unrolled: 11-line block ×4, first 2 shown]
	v_cndmask_b32_e32 v33, 0, v36, vcc
	v_add_u32_e32 v36, v35, v33
	v_mov_b32_e32 v35, 0
	s_branch .LBB45_61
.LBB45_60:                              ;   in Loop: Header=BB45_61 Depth=1
	s_or_b64 exec, exec, s[36:37]
	v_cmp_eq_u16_sdwa s[36:37], v37, v46 src0_sel:BYTE_0 src1_sel:DWORD
	ds_bpermute_b32 v65, v54, v36
	v_subrev_u32_e32 v34, 64, v34
	v_and_b32_e32 v40, s37, v39
	v_or_b32_e32 v40, 0x80000000, v40
	v_and_b32_e32 v41, s36, v38
	v_ffbl_b32_e32 v40, v40
	v_add_u32_e32 v40, 32, v40
	v_ffbl_b32_e32 v41, v41
	v_min_u32_e32 v40, v41, v40
	v_cmp_lt_u32_e32 vcc, v53, v40
	s_waitcnt lgkmcnt(0)
	s_nop 0
	v_cndmask_b32_e32 v41, 0, v65, vcc
	v_add_u32_e32 v36, v41, v36
	ds_bpermute_b32 v41, v55, v36
	v_cmp_le_u32_e32 vcc, v56, v40
	s_waitcnt lgkmcnt(0)
	s_nop 0
	v_cndmask_b32_e32 v41, 0, v41, vcc
	v_add_u32_e32 v36, v36, v41
	ds_bpermute_b32 v41, v57, v36
	v_cmp_le_u32_e32 vcc, v58, v40
	;; [unrolled: 6-line block ×5, first 2 shown]
	s_waitcnt lgkmcnt(0)
	s_nop 0
	v_cndmask_b32_e32 v40, 0, v41, vcc
	v_add3_u32 v36, v40, v33, v36
.LBB45_61:                              ; =>This Loop Header: Depth=1
                                        ;     Child Loop BB45_64 Depth 2
	v_cmp_ne_u16_sdwa s[36:37], v37, v46 src0_sel:BYTE_0 src1_sel:DWORD
	s_nop 1
	v_cndmask_b32_e64 v33, 0, 1, s[36:37]
	;;#ASMSTART
	;;#ASMEND
	s_nop 0
	v_cmp_ne_u32_e32 vcc, 0, v33
	s_cmp_lg_u64 vcc, exec
	v_mov_b32_e32 v33, v36
	s_cbranch_scc1 .LBB45_66
; %bb.62:                               ;   in Loop: Header=BB45_61 Depth=1
	v_lshl_add_u64 v[40:41], v[34:35], 3, s[30:31]
	global_load_dwordx2 v[36:37], v[40:41], off sc1
	s_waitcnt vmcnt(0)
	v_cmp_eq_u16_sdwa s[38:39], v37, v35 src0_sel:BYTE_0 src1_sel:DWORD
	s_and_saveexec_b64 s[36:37], s[38:39]
	s_cbranch_execz .LBB45_60
; %bb.63:                               ;   in Loop: Header=BB45_61 Depth=1
	s_mov_b64 s[38:39], 0
.LBB45_64:                              ;   Parent Loop BB45_61 Depth=1
                                        ; =>  This Inner Loop Header: Depth=2
	global_load_dwordx2 v[36:37], v[40:41], off sc1
	s_waitcnt vmcnt(0)
	v_cmp_ne_u16_sdwa s[40:41], v37, v35 src0_sel:BYTE_0 src1_sel:DWORD
	s_or_b64 s[38:39], s[40:41], s[38:39]
	s_andn2_b64 exec, exec, s[38:39]
	s_cbranch_execnz .LBB45_64
; %bb.65:                               ;   in Loop: Header=BB45_61 Depth=1
	s_or_b64 exec, exec, s[38:39]
	s_branch .LBB45_60
.LBB45_66:                              ;   in Loop: Header=BB45_61 Depth=1
                                        ; implicit-def: $vgpr36
                                        ; implicit-def: $vgpr37
	s_cbranch_execz .LBB45_61
; %bb.67:
	s_and_saveexec_b64 s[36:37], s[14:15]
	s_cbranch_execz .LBB45_69
; %bb.68:
	s_add_i32 s2, s2, 64
	s_mov_b32 s3, 0
	s_lshl_b64 s[2:3], s[2:3], 3
	s_add_u32 s2, s30, s2
	v_add_u32_e32 v34, v33, v32
	v_mov_b32_e32 v35, 2
	s_addc_u32 s3, s31, s3
	v_mov_b32_e32 v36, 0
	global_store_dwordx2 v36, v[34:35], s[2:3] sc1
	ds_write_b64 v36, v[32:33] offset:28672
.LBB45_69:
	s_or_b64 exec, exec, s[36:37]
	v_cmp_eq_u32_e32 vcc, 0, v0
	s_and_b64 exec, exec, vcc
	s_cbranch_execz .LBB45_71
; %bb.70:
	v_mov_b32_e32 v32, 0
	ds_write_b32 v32, v33 offset:28
.LBB45_71:
	s_or_b64 exec, exec, s[34:35]
	v_mov_b32_e32 v32, 0
	s_waitcnt lgkmcnt(0)
	s_barrier
	ds_read_b32 v33, v32 offset:28
	v_cndmask_b32_e64 v34, v44, v42, s[14:15]
	v_cmp_ne_u32_e32 vcc, 0, v0
	s_waitcnt lgkmcnt(0)
	s_barrier
	v_cndmask_b32_e32 v34, 0, v34, vcc
	v_add_u32_e32 v46, v33, v34
	v_add_u32_e32 v44, v46, v1
	ds_read_b64 v[32:33], v32 offset:28672
	v_add_u32_e32 v42, v44, v43
	v_add_u32_e32 v40, v42, v45
	;; [unrolled: 1-line block ×5, first 2 shown]
	s_waitcnt lgkmcnt(0)
	v_readfirstlane_b32 s33, v32
	v_readfirstlane_b32 s2, v33
	v_lshrrev_b64 v[32:33], 24, v[30:31]
	s_branch .LBB45_82
.LBB45_72:
                                        ; implicit-def: $sgpr2
                                        ; implicit-def: $sgpr33
                                        ; implicit-def: $vgpr34
                                        ; implicit-def: $vgpr36
                                        ; implicit-def: $vgpr38
                                        ; implicit-def: $vgpr40
                                        ; implicit-def: $vgpr42
                                        ; implicit-def: $vgpr44
                                        ; implicit-def: $vgpr46
	v_lshrrev_b64 v[32:33], 24, v[30:31]
	s_cbranch_execz .LBB45_82
; %bb.73:
	s_nop 0
	v_mov_b32_dpp v33, v52 row_shr:1 row_mask:0xf bank_mask:0xf
	v_cndmask_b32_e64 v33, v33, 0, s[12:13]
	v_add_u32_e32 v33, v33, v52
	s_nop 1
	v_mov_b32_dpp v34, v33 row_shr:2 row_mask:0xf bank_mask:0xf
	v_cndmask_b32_e64 v34, 0, v34, s[10:11]
	v_add_u32_e32 v33, v33, v34
	;; [unrolled: 4-line block ×4, first 2 shown]
	s_nop 1
	v_mov_b32_dpp v34, v33 row_bcast:15 row_mask:0xf bank_mask:0xf
	v_cndmask_b32_e64 v34, v34, 0, s[4:5]
	v_add_u32_e32 v33, v33, v34
	s_nop 1
	v_mov_b32_dpp v34, v33 row_bcast:31 row_mask:0xf bank_mask:0xf
	v_cndmask_b32_e64 v34, 0, v34, s[0:1]
	v_add_u32_e32 v33, v33, v34
	s_and_saveexec_b64 s[0:1], s[16:17]
	s_cbranch_execz .LBB45_75
; %bb.74:
	v_lshlrev_b32_e32 v34, 2, v51
	ds_write_b32 v34, v33
.LBB45_75:
	s_or_b64 exec, exec, s[0:1]
	v_cmp_gt_u32_e32 vcc, 8, v0
	s_waitcnt lgkmcnt(0)
	s_barrier
	s_and_saveexec_b64 s[0:1], vcc
	s_cbranch_execz .LBB45_77
; %bb.76:
	v_lshlrev_b32_e32 v34, 2, v0
	ds_read_b32 v35, v34
	v_and_b32_e32 v36, 7, v50
	v_cmp_ne_u32_e32 vcc, 0, v36
	s_waitcnt lgkmcnt(0)
	v_mov_b32_dpp v37, v35 row_shr:1 row_mask:0xf bank_mask:0xf
	v_cndmask_b32_e32 v37, 0, v37, vcc
	v_add_u32_e32 v35, v37, v35
	v_cmp_lt_u32_e32 vcc, 1, v36
	s_nop 0
	v_mov_b32_dpp v37, v35 row_shr:2 row_mask:0xf bank_mask:0xf
	v_cndmask_b32_e32 v37, 0, v37, vcc
	v_add_u32_e32 v35, v35, v37
	v_cmp_lt_u32_e32 vcc, 3, v36
	s_nop 0
	v_mov_b32_dpp v37, v35 row_shr:4 row_mask:0xf bank_mask:0xf
	v_cndmask_b32_e32 v36, 0, v37, vcc
	v_add_u32_e32 v35, v35, v36
	ds_write_b32 v34, v35
.LBB45_77:
	s_or_b64 exec, exec, s[0:1]
	v_cmp_lt_u32_e32 vcc, 63, v0
	v_mov_b32_e32 v35, 0
	v_mov_b32_e32 v34, 0
	s_waitcnt lgkmcnt(0)
	s_barrier
	s_and_saveexec_b64 s[0:1], vcc
	s_cbranch_execz .LBB45_79
; %bb.78:
	v_lshl_add_u32 v34, v51, 2, -4
	ds_read_b32 v34, v34
.LBB45_79:
	s_or_b64 exec, exec, s[0:1]
	v_add_u32_e32 v36, -1, v50
	v_and_b32_e32 v37, 64, v50
	v_cmp_lt_i32_e32 vcc, v36, v37
	s_waitcnt lgkmcnt(0)
	v_add_u32_e32 v33, v34, v33
	ds_read_b32 v35, v35 offset:28
	v_cndmask_b32_e32 v36, v36, v50, vcc
	v_lshlrev_b32_e32 v36, 2, v36
	ds_bpermute_b32 v33, v36, v33
	s_mov_b32 s2, 0
	v_cmp_eq_u32_e32 vcc, 0, v0
	s_waitcnt lgkmcnt(1)
	v_readfirstlane_b32 s33, v35
	s_and_saveexec_b64 s[0:1], vcc
	s_cbranch_execz .LBB45_81
; %bb.80:
	v_mov_b32_e32 v35, 0
	v_mov_b32_e32 v36, s33
	v_mov_b32_e32 v37, 2
	global_store_dwordx2 v35, v[36:37], s[30:31] offset:512 sc1
.LBB45_81:
	s_or_b64 exec, exec, s[0:1]
	v_cmp_eq_u32_e64 s[0:1], 0, v50
	s_waitcnt lgkmcnt(0)
	s_barrier
	v_cndmask_b32_e64 v33, v33, v34, s[0:1]
	v_cndmask_b32_e64 v46, v33, 0, vcc
	v_add_u32_e32 v44, v46, v1
	v_add_u32_e32 v42, v44, v43
	;; [unrolled: 1-line block ×6, first 2 shown]
.LBB45_82:
	s_cmpk_lt_u32 s33, 0x201
	s_cselect_b64 s[4:5], -1, 0
	v_lshrrev_b32_e32 v33, 8, v30
	v_lshrrev_b32_e32 v1, 8, v31
	s_mov_b64 s[0:1], -1
	s_and_b64 vcc, exec, s[4:5]
	s_cbranch_vccz .LBB45_105
; %bb.83:
	s_add_i32 s3, s2, s33
	v_cmp_gt_u32_e32 vcc, s3, v46
	s_or_b64 s[6:7], s[28:29], vcc
	s_and_saveexec_b64 s[0:1], s[6:7]
	s_cbranch_execz .LBB45_86
; %bb.84:
	v_and_b32_e32 v35, 1, v30
	v_cmp_eq_u32_e32 vcc, 1, v35
	s_and_b64 exec, exec, vcc
	s_cbranch_execz .LBB45_86
; %bb.85:
	s_lshl_b64 s[6:7], s[18:19], 3
	s_add_u32 s6, s24, s6
	s_addc_u32 s7, s25, s7
	v_mov_b32_e32 v47, 0
	v_lshl_add_u64 v[48:49], v[46:47], 3, s[6:7]
	global_store_dwordx2 v[48:49], v[22:23], off
.LBB45_86:
	s_or_b64 exec, exec, s[0:1]
	v_cmp_gt_u32_e32 vcc, s3, v44
	s_or_b64 s[6:7], s[28:29], vcc
	s_and_saveexec_b64 s[0:1], s[6:7]
	s_cbranch_execz .LBB45_89
; %bb.87:
	v_and_b32_e32 v35, 1, v33
	v_cmp_eq_u32_e32 vcc, 1, v35
	s_and_b64 exec, exec, vcc
	s_cbranch_execz .LBB45_89
; %bb.88:
	s_lshl_b64 s[6:7], s[18:19], 3
	s_add_u32 s6, s24, s6
	s_addc_u32 s7, s25, s7
	v_mov_b32_e32 v45, 0
	v_lshl_add_u64 v[48:49], v[44:45], 3, s[6:7]
	global_store_dwordx2 v[48:49], v[24:25], off
.LBB45_89:
	s_or_b64 exec, exec, s[0:1]
	v_cmp_gt_u32_e32 vcc, s3, v42
	s_or_b64 s[6:7], s[28:29], vcc
	s_and_saveexec_b64 s[0:1], s[6:7]
	s_cbranch_execz .LBB45_92
; %bb.90:
	v_mov_b32_e32 v35, 1
	v_and_b32_sdwa v35, v35, v30 dst_sel:DWORD dst_unused:UNUSED_PAD src0_sel:DWORD src1_sel:WORD_1
	v_cmp_eq_u32_e32 vcc, 1, v35
	s_and_b64 exec, exec, vcc
	s_cbranch_execz .LBB45_92
; %bb.91:
	s_lshl_b64 s[6:7], s[18:19], 3
	s_add_u32 s6, s24, s6
	s_addc_u32 s7, s25, s7
	v_mov_b32_e32 v43, 0
	v_lshl_add_u64 v[48:49], v[42:43], 3, s[6:7]
	global_store_dwordx2 v[48:49], v[18:19], off
.LBB45_92:
	s_or_b64 exec, exec, s[0:1]
	v_cmp_gt_u32_e32 vcc, s3, v40
	s_or_b64 s[6:7], s[28:29], vcc
	s_and_saveexec_b64 s[0:1], s[6:7]
	s_cbranch_execz .LBB45_95
; %bb.93:
	v_and_b32_e32 v35, 1, v32
	v_cmp_eq_u32_e32 vcc, 1, v35
	s_and_b64 exec, exec, vcc
	s_cbranch_execz .LBB45_95
; %bb.94:
	s_lshl_b64 s[6:7], s[18:19], 3
	s_add_u32 s6, s24, s6
	s_addc_u32 s7, s25, s7
	v_mov_b32_e32 v41, 0
	v_lshl_add_u64 v[48:49], v[40:41], 3, s[6:7]
	global_store_dwordx2 v[48:49], v[20:21], off
.LBB45_95:
	s_or_b64 exec, exec, s[0:1]
	v_cmp_gt_u32_e32 vcc, s3, v38
	s_or_b64 s[6:7], s[28:29], vcc
	s_and_saveexec_b64 s[0:1], s[6:7]
	s_cbranch_execz .LBB45_98
; %bb.96:
	v_and_b32_e32 v35, 1, v31
	v_cmp_eq_u32_e32 vcc, 1, v35
	s_and_b64 exec, exec, vcc
	s_cbranch_execz .LBB45_98
; %bb.97:
	s_lshl_b64 s[6:7], s[18:19], 3
	s_add_u32 s6, s24, s6
	s_addc_u32 s7, s25, s7
	v_mov_b32_e32 v39, 0
	v_lshl_add_u64 v[48:49], v[38:39], 3, s[6:7]
	global_store_dwordx2 v[48:49], v[14:15], off
.LBB45_98:
	;; [unrolled: 18-line block ×3, first 2 shown]
	s_or_b64 exec, exec, s[0:1]
	v_cmp_gt_u32_e32 vcc, s3, v34
	s_or_b64 s[6:7], s[28:29], vcc
	s_and_saveexec_b64 s[0:1], s[6:7]
	s_cbranch_execz .LBB45_104
; %bb.102:
	v_mov_b32_e32 v35, 1
	v_and_b32_sdwa v35, v35, v31 dst_sel:DWORD dst_unused:UNUSED_PAD src0_sel:DWORD src1_sel:WORD_1
	v_cmp_eq_u32_e32 vcc, 1, v35
	s_and_b64 exec, exec, vcc
	s_cbranch_execz .LBB45_104
; %bb.103:
	s_lshl_b64 s[6:7], s[18:19], 3
	s_add_u32 s6, s24, s6
	s_addc_u32 s7, s25, s7
	v_mov_b32_e32 v35, 0
	v_lshl_add_u64 v[48:49], v[34:35], 3, s[6:7]
	global_store_dwordx2 v[48:49], v[28:29], off
.LBB45_104:
	s_or_b64 exec, exec, s[0:1]
	s_mov_b64 s[0:1], 0
.LBB45_105:
	v_and_b32_e32 v48, 1, v30
	s_and_b64 vcc, exec, s[0:1]
	v_cmp_eq_u32_e64 s[0:1], 1, v48
	s_cbranch_vccz .LBB45_124
; %bb.106:
	s_and_saveexec_b64 s[6:7], s[0:1]
	s_cbranch_execz .LBB45_108
; %bb.107:
	v_subrev_u32_e32 v35, s2, v46
	v_lshlrev_b32_e32 v35, 3, v35
	ds_write_b64 v35, v[22:23]
.LBB45_108:
	s_or_b64 exec, exec, s[6:7]
	v_and_b32_e32 v22, 1, v33
	v_cmp_eq_u32_e32 vcc, 1, v22
	s_and_saveexec_b64 s[0:1], vcc
	s_cbranch_execz .LBB45_110
; %bb.109:
	v_subrev_u32_e32 v22, s2, v44
	v_lshlrev_b32_e32 v22, 3, v22
	ds_write_b64 v22, v[24:25]
.LBB45_110:
	s_or_b64 exec, exec, s[0:1]
	v_mov_b32_e32 v22, 1
	v_and_b32_sdwa v22, v22, v30 dst_sel:DWORD dst_unused:UNUSED_PAD src0_sel:DWORD src1_sel:WORD_1
	v_cmp_eq_u32_e32 vcc, 1, v22
	s_and_saveexec_b64 s[0:1], vcc
	s_cbranch_execz .LBB45_112
; %bb.111:
	v_subrev_u32_e32 v22, s2, v42
	v_lshlrev_b32_e32 v22, 3, v22
	ds_write_b64 v22, v[18:19]
.LBB45_112:
	s_or_b64 exec, exec, s[0:1]
	v_and_b32_e32 v18, 1, v32
	v_cmp_eq_u32_e32 vcc, 1, v18
	s_and_saveexec_b64 s[0:1], vcc
	s_cbranch_execz .LBB45_114
; %bb.113:
	v_subrev_u32_e32 v18, s2, v40
	v_lshlrev_b32_e32 v18, 3, v18
	ds_write_b64 v18, v[20:21]
.LBB45_114:
	s_or_b64 exec, exec, s[0:1]
	v_and_b32_e32 v18, 1, v31
	;; [unrolled: 10-line block ×3, first 2 shown]
	v_cmp_eq_u32_e32 vcc, 1, v14
	s_and_saveexec_b64 s[0:1], vcc
	s_cbranch_execz .LBB45_118
; %bb.117:
	v_subrev_u32_e32 v14, s2, v36
	v_lshlrev_b32_e32 v14, 3, v14
	ds_write_b64 v14, v[16:17]
.LBB45_118:
	s_or_b64 exec, exec, s[0:1]
	v_mov_b32_e32 v14, 1
	v_and_b32_sdwa v14, v14, v31 dst_sel:DWORD dst_unused:UNUSED_PAD src0_sel:DWORD src1_sel:WORD_1
	v_cmp_eq_u32_e32 vcc, 1, v14
	s_and_saveexec_b64 s[0:1], vcc
	s_cbranch_execz .LBB45_120
; %bb.119:
	v_subrev_u32_e32 v14, s2, v34
	v_lshlrev_b32_e32 v14, 3, v14
	ds_write_b64 v14, v[28:29]
.LBB45_120:
	s_or_b64 exec, exec, s[0:1]
	v_cmp_gt_u32_e32 vcc, s33, v0
	s_waitcnt lgkmcnt(0)
	s_barrier
	s_and_saveexec_b64 s[0:1], vcc
	s_cbranch_execz .LBB45_123
; %bb.121:
	s_mov_b32 s3, 0
	s_lshl_b64 s[6:7], s[18:19], 3
	s_lshl_b64 s[8:9], s[2:3], 3
	s_add_u32 s3, s6, s8
	s_addc_u32 s7, s7, s9
	s_add_u32 s6, s24, s3
	v_lshlrev_b32_e32 v14, 3, v0
	v_mov_b32_e32 v15, 0
	s_addc_u32 s7, s25, s7
	v_lshl_add_u64 v[16:17], s[6:7], 0, v[14:15]
	s_mov_b64 s[6:7], 0
	s_mov_b64 s[8:9], 0x1000
	v_mov_b32_e32 v15, v0
.LBB45_122:                             ; =>This Inner Loop Header: Depth=1
	ds_read_b64 v[18:19], v14
	v_add_u32_e32 v15, 0x200, v15
	v_cmp_le_u32_e32 vcc, s33, v15
	v_add_u32_e32 v14, 0x1000, v14
	s_or_b64 s[6:7], vcc, s[6:7]
	s_waitcnt lgkmcnt(0)
	global_store_dwordx2 v[16:17], v[18:19], off
	v_lshl_add_u64 v[16:17], v[16:17], 0, s[8:9]
	s_andn2_b64 exec, exec, s[6:7]
	s_cbranch_execnz .LBB45_122
.LBB45_123:
	s_or_b64 exec, exec, s[0:1]
.LBB45_124:
	s_mov_b64 s[0:1], -1
	s_and_b64 vcc, exec, s[4:5]
	s_barrier
	s_cbranch_vccnz .LBB45_128
; %bb.125:
	s_and_b64 vcc, exec, s[0:1]
	s_cbranch_vccnz .LBB45_150
.LBB45_126:
	v_cmp_eq_u32_e32 vcc, 0, v0
	s_and_b64 s[0:1], vcc, s[22:23]
	s_and_saveexec_b64 s[4:5], s[0:1]
	s_cbranch_execnz .LBB45_168
.LBB45_127:
	s_endpgm
.LBB45_128:
	s_add_i32 s3, s2, s33
	v_cmp_gt_u32_e32 vcc, s3, v46
	s_or_b64 s[4:5], s[28:29], vcc
	s_and_saveexec_b64 s[0:1], s[4:5]
	s_cbranch_execz .LBB45_131
; %bb.129:
	v_cmp_eq_u32_e32 vcc, 1, v48
	s_and_b64 exec, exec, vcc
	s_cbranch_execz .LBB45_131
; %bb.130:
	s_lshl_b64 s[4:5], s[18:19], 3
	s_add_u32 s4, s26, s4
	s_addc_u32 s5, s27, s5
	v_mov_b32_e32 v47, 0
	v_lshl_add_u64 v[14:15], v[46:47], 3, s[4:5]
	global_store_dwordx2 v[14:15], v[10:11], off
.LBB45_131:
	s_or_b64 exec, exec, s[0:1]
	v_cmp_gt_u32_e32 vcc, s3, v44
	s_or_b64 s[4:5], s[28:29], vcc
	s_and_saveexec_b64 s[0:1], s[4:5]
	s_cbranch_execz .LBB45_134
; %bb.132:
	v_and_b32_e32 v14, 1, v33
	v_cmp_eq_u32_e32 vcc, 1, v14
	s_and_b64 exec, exec, vcc
	s_cbranch_execz .LBB45_134
; %bb.133:
	s_lshl_b64 s[4:5], s[18:19], 3
	s_add_u32 s4, s26, s4
	s_addc_u32 s5, s27, s5
	v_mov_b32_e32 v45, 0
	v_lshl_add_u64 v[14:15], v[44:45], 3, s[4:5]
	global_store_dwordx2 v[14:15], v[12:13], off
.LBB45_134:
	s_or_b64 exec, exec, s[0:1]
	v_cmp_gt_u32_e32 vcc, s3, v42
	s_or_b64 s[4:5], s[28:29], vcc
	s_and_saveexec_b64 s[0:1], s[4:5]
	s_cbranch_execz .LBB45_137
; %bb.135:
	v_mov_b32_e32 v14, 1
	v_and_b32_sdwa v14, v14, v30 dst_sel:DWORD dst_unused:UNUSED_PAD src0_sel:DWORD src1_sel:WORD_1
	v_cmp_eq_u32_e32 vcc, 1, v14
	s_and_b64 exec, exec, vcc
	s_cbranch_execz .LBB45_137
; %bb.136:
	s_lshl_b64 s[4:5], s[18:19], 3
	s_add_u32 s4, s26, s4
	s_addc_u32 s5, s27, s5
	v_mov_b32_e32 v43, 0
	v_lshl_add_u64 v[14:15], v[42:43], 3, s[4:5]
	global_store_dwordx2 v[14:15], v[6:7], off
.LBB45_137:
	s_or_b64 exec, exec, s[0:1]
	v_cmp_gt_u32_e32 vcc, s3, v40
	s_or_b64 s[4:5], s[28:29], vcc
	s_and_saveexec_b64 s[0:1], s[4:5]
	s_cbranch_execz .LBB45_140
; %bb.138:
	v_and_b32_e32 v14, 1, v32
	v_cmp_eq_u32_e32 vcc, 1, v14
	s_and_b64 exec, exec, vcc
	s_cbranch_execz .LBB45_140
; %bb.139:
	s_lshl_b64 s[4:5], s[18:19], 3
	s_add_u32 s4, s26, s4
	s_addc_u32 s5, s27, s5
	v_mov_b32_e32 v41, 0
	v_lshl_add_u64 v[14:15], v[40:41], 3, s[4:5]
	global_store_dwordx2 v[14:15], v[8:9], off
.LBB45_140:
	s_or_b64 exec, exec, s[0:1]
	v_cmp_gt_u32_e32 vcc, s3, v38
	s_or_b64 s[4:5], s[28:29], vcc
	s_and_saveexec_b64 s[0:1], s[4:5]
	s_cbranch_execz .LBB45_143
; %bb.141:
	v_and_b32_e32 v14, 1, v31
	v_cmp_eq_u32_e32 vcc, 1, v14
	s_and_b64 exec, exec, vcc
	s_cbranch_execz .LBB45_143
; %bb.142:
	s_lshl_b64 s[4:5], s[18:19], 3
	s_add_u32 s4, s26, s4
	s_addc_u32 s5, s27, s5
	v_mov_b32_e32 v39, 0
	v_lshl_add_u64 v[14:15], v[38:39], 3, s[4:5]
	global_store_dwordx2 v[14:15], v[2:3], off
.LBB45_143:
	s_or_b64 exec, exec, s[0:1]
	v_cmp_gt_u32_e32 vcc, s3, v36
	s_or_b64 s[4:5], s[28:29], vcc
	s_and_saveexec_b64 s[0:1], s[4:5]
	s_cbranch_execz .LBB45_146
; %bb.144:
	v_and_b32_e32 v14, 1, v1
	v_cmp_eq_u32_e32 vcc, 1, v14
	s_and_b64 exec, exec, vcc
	s_cbranch_execz .LBB45_146
; %bb.145:
	s_lshl_b64 s[4:5], s[18:19], 3
	s_add_u32 s4, s26, s4
	s_addc_u32 s5, s27, s5
	v_mov_b32_e32 v37, 0
	v_lshl_add_u64 v[14:15], v[36:37], 3, s[4:5]
	global_store_dwordx2 v[14:15], v[4:5], off
.LBB45_146:
	s_or_b64 exec, exec, s[0:1]
	v_cmp_gt_u32_e32 vcc, s3, v34
	s_or_b64 s[4:5], s[28:29], vcc
	s_and_saveexec_b64 s[0:1], s[4:5]
	s_cbranch_execz .LBB45_149
; %bb.147:
	v_mov_b32_e32 v14, 1
	v_and_b32_sdwa v14, v14, v31 dst_sel:DWORD dst_unused:UNUSED_PAD src0_sel:DWORD src1_sel:WORD_1
	v_cmp_eq_u32_e32 vcc, 1, v14
	s_and_b64 exec, exec, vcc
	s_cbranch_execz .LBB45_149
; %bb.148:
	s_lshl_b64 s[4:5], s[18:19], 3
	s_add_u32 s4, s26, s4
	s_addc_u32 s5, s27, s5
	v_mov_b32_e32 v35, 0
	v_lshl_add_u64 v[14:15], v[34:35], 3, s[4:5]
	global_store_dwordx2 v[14:15], v[26:27], off
.LBB45_149:
	s_or_b64 exec, exec, s[0:1]
	s_branch .LBB45_126
.LBB45_150:
	v_cmp_eq_u32_e32 vcc, 1, v48
	s_and_saveexec_b64 s[0:1], vcc
	s_cbranch_execz .LBB45_152
; %bb.151:
	v_subrev_u32_e32 v14, s2, v46
	v_lshlrev_b32_e32 v14, 3, v14
	ds_write_b64 v14, v[10:11]
.LBB45_152:
	s_or_b64 exec, exec, s[0:1]
	v_and_b32_e32 v10, 1, v33
	v_cmp_eq_u32_e32 vcc, 1, v10
	s_and_saveexec_b64 s[0:1], vcc
	s_cbranch_execz .LBB45_154
; %bb.153:
	v_subrev_u32_e32 v10, s2, v44
	v_lshlrev_b32_e32 v10, 3, v10
	ds_write_b64 v10, v[12:13]
.LBB45_154:
	s_or_b64 exec, exec, s[0:1]
	v_mov_b32_e32 v10, 1
	v_and_b32_sdwa v10, v10, v30 dst_sel:DWORD dst_unused:UNUSED_PAD src0_sel:DWORD src1_sel:WORD_1
	v_cmp_eq_u32_e32 vcc, 1, v10
	s_and_saveexec_b64 s[0:1], vcc
	s_cbranch_execz .LBB45_156
; %bb.155:
	v_subrev_u32_e32 v10, s2, v42
	v_lshlrev_b32_e32 v10, 3, v10
	ds_write_b64 v10, v[6:7]
.LBB45_156:
	s_or_b64 exec, exec, s[0:1]
	v_and_b32_e32 v6, 1, v32
	v_cmp_eq_u32_e32 vcc, 1, v6
	s_and_saveexec_b64 s[0:1], vcc
	s_cbranch_execz .LBB45_158
; %bb.157:
	v_subrev_u32_e32 v6, s2, v40
	v_lshlrev_b32_e32 v6, 3, v6
	ds_write_b64 v6, v[8:9]
.LBB45_158:
	s_or_b64 exec, exec, s[0:1]
	v_and_b32_e32 v6, 1, v31
	;; [unrolled: 10-line block ×3, first 2 shown]
	v_cmp_eq_u32_e32 vcc, 1, v1
	s_and_saveexec_b64 s[0:1], vcc
	s_cbranch_execz .LBB45_162
; %bb.161:
	v_subrev_u32_e32 v1, s2, v36
	v_lshlrev_b32_e32 v1, 3, v1
	ds_write_b64 v1, v[4:5]
.LBB45_162:
	s_or_b64 exec, exec, s[0:1]
	v_mov_b32_e32 v1, 1
	v_and_b32_sdwa v1, v1, v31 dst_sel:DWORD dst_unused:UNUSED_PAD src0_sel:DWORD src1_sel:WORD_1
	v_cmp_eq_u32_e32 vcc, 1, v1
	s_and_saveexec_b64 s[0:1], vcc
	s_cbranch_execz .LBB45_164
; %bb.163:
	v_subrev_u32_e32 v1, s2, v34
	v_lshlrev_b32_e32 v1, 3, v1
	ds_write_b64 v1, v[26:27]
.LBB45_164:
	s_or_b64 exec, exec, s[0:1]
	v_cmp_gt_u32_e32 vcc, s33, v0
	s_waitcnt lgkmcnt(0)
	s_barrier
	s_and_saveexec_b64 s[0:1], vcc
	s_cbranch_execz .LBB45_167
; %bb.165:
	s_mov_b32 s3, 0
	s_lshl_b64 s[4:5], s[18:19], 3
	s_lshl_b64 s[6:7], s[2:3], 3
	s_add_u32 s3, s4, s6
	s_addc_u32 s5, s5, s7
	s_add_u32 s4, s26, s3
	v_lshlrev_b32_e32 v2, 3, v0
	v_mov_b32_e32 v3, 0
	s_addc_u32 s5, s27, s5
	v_lshl_add_u64 v[4:5], s[4:5], 0, v[2:3]
	s_mov_b64 s[4:5], 0
	s_mov_b64 s[6:7], 0x1000
	v_mov_b32_e32 v1, v0
.LBB45_166:                             ; =>This Inner Loop Header: Depth=1
	ds_read_b64 v[6:7], v2
	v_add_u32_e32 v1, 0x200, v1
	v_cmp_le_u32_e32 vcc, s33, v1
	v_add_u32_e32 v2, 0x1000, v2
	s_or_b64 s[4:5], vcc, s[4:5]
	s_waitcnt lgkmcnt(0)
	global_store_dwordx2 v[4:5], v[6:7], off
	v_lshl_add_u64 v[4:5], v[4:5], 0, s[6:7]
	s_andn2_b64 exec, exec, s[4:5]
	s_cbranch_execnz .LBB45_166
.LBB45_167:
	s_or_b64 exec, exec, s[0:1]
	v_cmp_eq_u32_e32 vcc, 0, v0
	s_and_b64 s[0:1], vcc, s[22:23]
	s_and_saveexec_b64 s[4:5], s[0:1]
	s_cbranch_execz .LBB45_127
.LBB45_168:
	s_add_u32 s0, s18, s33
	s_addc_u32 s1, s19, 0
	s_add_u32 s0, s0, s2
	s_addc_u32 s1, s1, 0
	v_mov_b32_e32 v2, 0
	v_mov_b64_e32 v[0:1], s[0:1]
	global_store_dwordx2 v2, v[0:1], s[20:21]
	s_endpgm
.LBB45_169:
	s_or_b64 exec, exec, s[4:5]
	s_and_saveexec_b64 s[4:5], s[16:17]
	s_cbranch_execnz .LBB45_42
	s_branch .LBB45_43
	.section	.rodata,"a",@progbits
	.p2align	6, 0x0
	.amdhsa_kernel _ZN7rocprim17ROCPRIM_400000_NS6detail17trampoline_kernelINS0_14default_configENS1_25partition_config_selectorILNS1_17partition_subalgoE9EllbEEZZNS1_14partition_implILS5_9ELb0ES3_jPKlN6thrust23THRUST_200600_302600_NS17counting_iteratorIlNSB_11use_defaultESD_SD_EEPNS0_10empty_typeENS0_5tupleIJPlSF_EEENSH_IJSI_SG_EEENS0_18inequality_wrapperIN6hipcub16HIPCUB_304000_NS8EqualityEEESI_JSF_EEE10hipError_tPvRmT3_T4_T5_T6_T7_T9_mT8_P12ihipStream_tbDpT10_ENKUlT_T0_E_clISt17integral_constantIbLb0EES19_EEDaS14_S15_EUlS14_E_NS1_11comp_targetILNS1_3genE5ELNS1_11target_archE942ELNS1_3gpuE9ELNS1_3repE0EEENS1_30default_config_static_selectorELNS0_4arch9wavefront6targetE1EEEvT1_
		.amdhsa_group_segment_fixed_size 28680
		.amdhsa_private_segment_fixed_size 0
		.amdhsa_kernarg_size 112
		.amdhsa_user_sgpr_count 2
		.amdhsa_user_sgpr_dispatch_ptr 0
		.amdhsa_user_sgpr_queue_ptr 0
		.amdhsa_user_sgpr_kernarg_segment_ptr 1
		.amdhsa_user_sgpr_dispatch_id 0
		.amdhsa_user_sgpr_kernarg_preload_length 0
		.amdhsa_user_sgpr_kernarg_preload_offset 0
		.amdhsa_user_sgpr_private_segment_size 0
		.amdhsa_uses_dynamic_stack 0
		.amdhsa_enable_private_segment 0
		.amdhsa_system_sgpr_workgroup_id_x 1
		.amdhsa_system_sgpr_workgroup_id_y 0
		.amdhsa_system_sgpr_workgroup_id_z 0
		.amdhsa_system_sgpr_workgroup_info 0
		.amdhsa_system_vgpr_workitem_id 0
		.amdhsa_next_free_vgpr 66
		.amdhsa_next_free_sgpr 42
		.amdhsa_accum_offset 68
		.amdhsa_reserve_vcc 1
		.amdhsa_float_round_mode_32 0
		.amdhsa_float_round_mode_16_64 0
		.amdhsa_float_denorm_mode_32 3
		.amdhsa_float_denorm_mode_16_64 3
		.amdhsa_dx10_clamp 1
		.amdhsa_ieee_mode 1
		.amdhsa_fp16_overflow 0
		.amdhsa_tg_split 0
		.amdhsa_exception_fp_ieee_invalid_op 0
		.amdhsa_exception_fp_denorm_src 0
		.amdhsa_exception_fp_ieee_div_zero 0
		.amdhsa_exception_fp_ieee_overflow 0
		.amdhsa_exception_fp_ieee_underflow 0
		.amdhsa_exception_fp_ieee_inexact 0
		.amdhsa_exception_int_div_zero 0
	.end_amdhsa_kernel
	.section	.text._ZN7rocprim17ROCPRIM_400000_NS6detail17trampoline_kernelINS0_14default_configENS1_25partition_config_selectorILNS1_17partition_subalgoE9EllbEEZZNS1_14partition_implILS5_9ELb0ES3_jPKlN6thrust23THRUST_200600_302600_NS17counting_iteratorIlNSB_11use_defaultESD_SD_EEPNS0_10empty_typeENS0_5tupleIJPlSF_EEENSH_IJSI_SG_EEENS0_18inequality_wrapperIN6hipcub16HIPCUB_304000_NS8EqualityEEESI_JSF_EEE10hipError_tPvRmT3_T4_T5_T6_T7_T9_mT8_P12ihipStream_tbDpT10_ENKUlT_T0_E_clISt17integral_constantIbLb0EES19_EEDaS14_S15_EUlS14_E_NS1_11comp_targetILNS1_3genE5ELNS1_11target_archE942ELNS1_3gpuE9ELNS1_3repE0EEENS1_30default_config_static_selectorELNS0_4arch9wavefront6targetE1EEEvT1_,"axG",@progbits,_ZN7rocprim17ROCPRIM_400000_NS6detail17trampoline_kernelINS0_14default_configENS1_25partition_config_selectorILNS1_17partition_subalgoE9EllbEEZZNS1_14partition_implILS5_9ELb0ES3_jPKlN6thrust23THRUST_200600_302600_NS17counting_iteratorIlNSB_11use_defaultESD_SD_EEPNS0_10empty_typeENS0_5tupleIJPlSF_EEENSH_IJSI_SG_EEENS0_18inequality_wrapperIN6hipcub16HIPCUB_304000_NS8EqualityEEESI_JSF_EEE10hipError_tPvRmT3_T4_T5_T6_T7_T9_mT8_P12ihipStream_tbDpT10_ENKUlT_T0_E_clISt17integral_constantIbLb0EES19_EEDaS14_S15_EUlS14_E_NS1_11comp_targetILNS1_3genE5ELNS1_11target_archE942ELNS1_3gpuE9ELNS1_3repE0EEENS1_30default_config_static_selectorELNS0_4arch9wavefront6targetE1EEEvT1_,comdat
.Lfunc_end45:
	.size	_ZN7rocprim17ROCPRIM_400000_NS6detail17trampoline_kernelINS0_14default_configENS1_25partition_config_selectorILNS1_17partition_subalgoE9EllbEEZZNS1_14partition_implILS5_9ELb0ES3_jPKlN6thrust23THRUST_200600_302600_NS17counting_iteratorIlNSB_11use_defaultESD_SD_EEPNS0_10empty_typeENS0_5tupleIJPlSF_EEENSH_IJSI_SG_EEENS0_18inequality_wrapperIN6hipcub16HIPCUB_304000_NS8EqualityEEESI_JSF_EEE10hipError_tPvRmT3_T4_T5_T6_T7_T9_mT8_P12ihipStream_tbDpT10_ENKUlT_T0_E_clISt17integral_constantIbLb0EES19_EEDaS14_S15_EUlS14_E_NS1_11comp_targetILNS1_3genE5ELNS1_11target_archE942ELNS1_3gpuE9ELNS1_3repE0EEENS1_30default_config_static_selectorELNS0_4arch9wavefront6targetE1EEEvT1_, .Lfunc_end45-_ZN7rocprim17ROCPRIM_400000_NS6detail17trampoline_kernelINS0_14default_configENS1_25partition_config_selectorILNS1_17partition_subalgoE9EllbEEZZNS1_14partition_implILS5_9ELb0ES3_jPKlN6thrust23THRUST_200600_302600_NS17counting_iteratorIlNSB_11use_defaultESD_SD_EEPNS0_10empty_typeENS0_5tupleIJPlSF_EEENSH_IJSI_SG_EEENS0_18inequality_wrapperIN6hipcub16HIPCUB_304000_NS8EqualityEEESI_JSF_EEE10hipError_tPvRmT3_T4_T5_T6_T7_T9_mT8_P12ihipStream_tbDpT10_ENKUlT_T0_E_clISt17integral_constantIbLb0EES19_EEDaS14_S15_EUlS14_E_NS1_11comp_targetILNS1_3genE5ELNS1_11target_archE942ELNS1_3gpuE9ELNS1_3repE0EEENS1_30default_config_static_selectorELNS0_4arch9wavefront6targetE1EEEvT1_
                                        ; -- End function
	.section	.AMDGPU.csdata,"",@progbits
; Kernel info:
; codeLenInByte = 6708
; NumSgprs: 48
; NumVgprs: 66
; NumAgprs: 0
; TotalNumVgprs: 66
; ScratchSize: 0
; MemoryBound: 0
; FloatMode: 240
; IeeeMode: 1
; LDSByteSize: 28680 bytes/workgroup (compile time only)
; SGPRBlocks: 5
; VGPRBlocks: 8
; NumSGPRsForWavesPerEU: 48
; NumVGPRsForWavesPerEU: 66
; AccumOffset: 68
; Occupancy: 4
; WaveLimiterHint : 1
; COMPUTE_PGM_RSRC2:SCRATCH_EN: 0
; COMPUTE_PGM_RSRC2:USER_SGPR: 2
; COMPUTE_PGM_RSRC2:TRAP_HANDLER: 0
; COMPUTE_PGM_RSRC2:TGID_X_EN: 1
; COMPUTE_PGM_RSRC2:TGID_Y_EN: 0
; COMPUTE_PGM_RSRC2:TGID_Z_EN: 0
; COMPUTE_PGM_RSRC2:TIDIG_COMP_CNT: 0
; COMPUTE_PGM_RSRC3_GFX90A:ACCUM_OFFSET: 16
; COMPUTE_PGM_RSRC3_GFX90A:TG_SPLIT: 0
	.section	.text._ZN7rocprim17ROCPRIM_400000_NS6detail17trampoline_kernelINS0_14default_configENS1_25partition_config_selectorILNS1_17partition_subalgoE9EllbEEZZNS1_14partition_implILS5_9ELb0ES3_jPKlN6thrust23THRUST_200600_302600_NS17counting_iteratorIlNSB_11use_defaultESD_SD_EEPNS0_10empty_typeENS0_5tupleIJPlSF_EEENSH_IJSI_SG_EEENS0_18inequality_wrapperIN6hipcub16HIPCUB_304000_NS8EqualityEEESI_JSF_EEE10hipError_tPvRmT3_T4_T5_T6_T7_T9_mT8_P12ihipStream_tbDpT10_ENKUlT_T0_E_clISt17integral_constantIbLb0EES19_EEDaS14_S15_EUlS14_E_NS1_11comp_targetILNS1_3genE4ELNS1_11target_archE910ELNS1_3gpuE8ELNS1_3repE0EEENS1_30default_config_static_selectorELNS0_4arch9wavefront6targetE1EEEvT1_,"axG",@progbits,_ZN7rocprim17ROCPRIM_400000_NS6detail17trampoline_kernelINS0_14default_configENS1_25partition_config_selectorILNS1_17partition_subalgoE9EllbEEZZNS1_14partition_implILS5_9ELb0ES3_jPKlN6thrust23THRUST_200600_302600_NS17counting_iteratorIlNSB_11use_defaultESD_SD_EEPNS0_10empty_typeENS0_5tupleIJPlSF_EEENSH_IJSI_SG_EEENS0_18inequality_wrapperIN6hipcub16HIPCUB_304000_NS8EqualityEEESI_JSF_EEE10hipError_tPvRmT3_T4_T5_T6_T7_T9_mT8_P12ihipStream_tbDpT10_ENKUlT_T0_E_clISt17integral_constantIbLb0EES19_EEDaS14_S15_EUlS14_E_NS1_11comp_targetILNS1_3genE4ELNS1_11target_archE910ELNS1_3gpuE8ELNS1_3repE0EEENS1_30default_config_static_selectorELNS0_4arch9wavefront6targetE1EEEvT1_,comdat
	.protected	_ZN7rocprim17ROCPRIM_400000_NS6detail17trampoline_kernelINS0_14default_configENS1_25partition_config_selectorILNS1_17partition_subalgoE9EllbEEZZNS1_14partition_implILS5_9ELb0ES3_jPKlN6thrust23THRUST_200600_302600_NS17counting_iteratorIlNSB_11use_defaultESD_SD_EEPNS0_10empty_typeENS0_5tupleIJPlSF_EEENSH_IJSI_SG_EEENS0_18inequality_wrapperIN6hipcub16HIPCUB_304000_NS8EqualityEEESI_JSF_EEE10hipError_tPvRmT3_T4_T5_T6_T7_T9_mT8_P12ihipStream_tbDpT10_ENKUlT_T0_E_clISt17integral_constantIbLb0EES19_EEDaS14_S15_EUlS14_E_NS1_11comp_targetILNS1_3genE4ELNS1_11target_archE910ELNS1_3gpuE8ELNS1_3repE0EEENS1_30default_config_static_selectorELNS0_4arch9wavefront6targetE1EEEvT1_ ; -- Begin function _ZN7rocprim17ROCPRIM_400000_NS6detail17trampoline_kernelINS0_14default_configENS1_25partition_config_selectorILNS1_17partition_subalgoE9EllbEEZZNS1_14partition_implILS5_9ELb0ES3_jPKlN6thrust23THRUST_200600_302600_NS17counting_iteratorIlNSB_11use_defaultESD_SD_EEPNS0_10empty_typeENS0_5tupleIJPlSF_EEENSH_IJSI_SG_EEENS0_18inequality_wrapperIN6hipcub16HIPCUB_304000_NS8EqualityEEESI_JSF_EEE10hipError_tPvRmT3_T4_T5_T6_T7_T9_mT8_P12ihipStream_tbDpT10_ENKUlT_T0_E_clISt17integral_constantIbLb0EES19_EEDaS14_S15_EUlS14_E_NS1_11comp_targetILNS1_3genE4ELNS1_11target_archE910ELNS1_3gpuE8ELNS1_3repE0EEENS1_30default_config_static_selectorELNS0_4arch9wavefront6targetE1EEEvT1_
	.globl	_ZN7rocprim17ROCPRIM_400000_NS6detail17trampoline_kernelINS0_14default_configENS1_25partition_config_selectorILNS1_17partition_subalgoE9EllbEEZZNS1_14partition_implILS5_9ELb0ES3_jPKlN6thrust23THRUST_200600_302600_NS17counting_iteratorIlNSB_11use_defaultESD_SD_EEPNS0_10empty_typeENS0_5tupleIJPlSF_EEENSH_IJSI_SG_EEENS0_18inequality_wrapperIN6hipcub16HIPCUB_304000_NS8EqualityEEESI_JSF_EEE10hipError_tPvRmT3_T4_T5_T6_T7_T9_mT8_P12ihipStream_tbDpT10_ENKUlT_T0_E_clISt17integral_constantIbLb0EES19_EEDaS14_S15_EUlS14_E_NS1_11comp_targetILNS1_3genE4ELNS1_11target_archE910ELNS1_3gpuE8ELNS1_3repE0EEENS1_30default_config_static_selectorELNS0_4arch9wavefront6targetE1EEEvT1_
	.p2align	8
	.type	_ZN7rocprim17ROCPRIM_400000_NS6detail17trampoline_kernelINS0_14default_configENS1_25partition_config_selectorILNS1_17partition_subalgoE9EllbEEZZNS1_14partition_implILS5_9ELb0ES3_jPKlN6thrust23THRUST_200600_302600_NS17counting_iteratorIlNSB_11use_defaultESD_SD_EEPNS0_10empty_typeENS0_5tupleIJPlSF_EEENSH_IJSI_SG_EEENS0_18inequality_wrapperIN6hipcub16HIPCUB_304000_NS8EqualityEEESI_JSF_EEE10hipError_tPvRmT3_T4_T5_T6_T7_T9_mT8_P12ihipStream_tbDpT10_ENKUlT_T0_E_clISt17integral_constantIbLb0EES19_EEDaS14_S15_EUlS14_E_NS1_11comp_targetILNS1_3genE4ELNS1_11target_archE910ELNS1_3gpuE8ELNS1_3repE0EEENS1_30default_config_static_selectorELNS0_4arch9wavefront6targetE1EEEvT1_,@function
_ZN7rocprim17ROCPRIM_400000_NS6detail17trampoline_kernelINS0_14default_configENS1_25partition_config_selectorILNS1_17partition_subalgoE9EllbEEZZNS1_14partition_implILS5_9ELb0ES3_jPKlN6thrust23THRUST_200600_302600_NS17counting_iteratorIlNSB_11use_defaultESD_SD_EEPNS0_10empty_typeENS0_5tupleIJPlSF_EEENSH_IJSI_SG_EEENS0_18inequality_wrapperIN6hipcub16HIPCUB_304000_NS8EqualityEEESI_JSF_EEE10hipError_tPvRmT3_T4_T5_T6_T7_T9_mT8_P12ihipStream_tbDpT10_ENKUlT_T0_E_clISt17integral_constantIbLb0EES19_EEDaS14_S15_EUlS14_E_NS1_11comp_targetILNS1_3genE4ELNS1_11target_archE910ELNS1_3gpuE8ELNS1_3repE0EEENS1_30default_config_static_selectorELNS0_4arch9wavefront6targetE1EEEvT1_: ; @_ZN7rocprim17ROCPRIM_400000_NS6detail17trampoline_kernelINS0_14default_configENS1_25partition_config_selectorILNS1_17partition_subalgoE9EllbEEZZNS1_14partition_implILS5_9ELb0ES3_jPKlN6thrust23THRUST_200600_302600_NS17counting_iteratorIlNSB_11use_defaultESD_SD_EEPNS0_10empty_typeENS0_5tupleIJPlSF_EEENSH_IJSI_SG_EEENS0_18inequality_wrapperIN6hipcub16HIPCUB_304000_NS8EqualityEEESI_JSF_EEE10hipError_tPvRmT3_T4_T5_T6_T7_T9_mT8_P12ihipStream_tbDpT10_ENKUlT_T0_E_clISt17integral_constantIbLb0EES19_EEDaS14_S15_EUlS14_E_NS1_11comp_targetILNS1_3genE4ELNS1_11target_archE910ELNS1_3gpuE8ELNS1_3repE0EEENS1_30default_config_static_selectorELNS0_4arch9wavefront6targetE1EEEvT1_
; %bb.0:
	.section	.rodata,"a",@progbits
	.p2align	6, 0x0
	.amdhsa_kernel _ZN7rocprim17ROCPRIM_400000_NS6detail17trampoline_kernelINS0_14default_configENS1_25partition_config_selectorILNS1_17partition_subalgoE9EllbEEZZNS1_14partition_implILS5_9ELb0ES3_jPKlN6thrust23THRUST_200600_302600_NS17counting_iteratorIlNSB_11use_defaultESD_SD_EEPNS0_10empty_typeENS0_5tupleIJPlSF_EEENSH_IJSI_SG_EEENS0_18inequality_wrapperIN6hipcub16HIPCUB_304000_NS8EqualityEEESI_JSF_EEE10hipError_tPvRmT3_T4_T5_T6_T7_T9_mT8_P12ihipStream_tbDpT10_ENKUlT_T0_E_clISt17integral_constantIbLb0EES19_EEDaS14_S15_EUlS14_E_NS1_11comp_targetILNS1_3genE4ELNS1_11target_archE910ELNS1_3gpuE8ELNS1_3repE0EEENS1_30default_config_static_selectorELNS0_4arch9wavefront6targetE1EEEvT1_
		.amdhsa_group_segment_fixed_size 0
		.amdhsa_private_segment_fixed_size 0
		.amdhsa_kernarg_size 112
		.amdhsa_user_sgpr_count 2
		.amdhsa_user_sgpr_dispatch_ptr 0
		.amdhsa_user_sgpr_queue_ptr 0
		.amdhsa_user_sgpr_kernarg_segment_ptr 1
		.amdhsa_user_sgpr_dispatch_id 0
		.amdhsa_user_sgpr_kernarg_preload_length 0
		.amdhsa_user_sgpr_kernarg_preload_offset 0
		.amdhsa_user_sgpr_private_segment_size 0
		.amdhsa_uses_dynamic_stack 0
		.amdhsa_enable_private_segment 0
		.amdhsa_system_sgpr_workgroup_id_x 1
		.amdhsa_system_sgpr_workgroup_id_y 0
		.amdhsa_system_sgpr_workgroup_id_z 0
		.amdhsa_system_sgpr_workgroup_info 0
		.amdhsa_system_vgpr_workitem_id 0
		.amdhsa_next_free_vgpr 1
		.amdhsa_next_free_sgpr 0
		.amdhsa_accum_offset 4
		.amdhsa_reserve_vcc 0
		.amdhsa_float_round_mode_32 0
		.amdhsa_float_round_mode_16_64 0
		.amdhsa_float_denorm_mode_32 3
		.amdhsa_float_denorm_mode_16_64 3
		.amdhsa_dx10_clamp 1
		.amdhsa_ieee_mode 1
		.amdhsa_fp16_overflow 0
		.amdhsa_tg_split 0
		.amdhsa_exception_fp_ieee_invalid_op 0
		.amdhsa_exception_fp_denorm_src 0
		.amdhsa_exception_fp_ieee_div_zero 0
		.amdhsa_exception_fp_ieee_overflow 0
		.amdhsa_exception_fp_ieee_underflow 0
		.amdhsa_exception_fp_ieee_inexact 0
		.amdhsa_exception_int_div_zero 0
	.end_amdhsa_kernel
	.section	.text._ZN7rocprim17ROCPRIM_400000_NS6detail17trampoline_kernelINS0_14default_configENS1_25partition_config_selectorILNS1_17partition_subalgoE9EllbEEZZNS1_14partition_implILS5_9ELb0ES3_jPKlN6thrust23THRUST_200600_302600_NS17counting_iteratorIlNSB_11use_defaultESD_SD_EEPNS0_10empty_typeENS0_5tupleIJPlSF_EEENSH_IJSI_SG_EEENS0_18inequality_wrapperIN6hipcub16HIPCUB_304000_NS8EqualityEEESI_JSF_EEE10hipError_tPvRmT3_T4_T5_T6_T7_T9_mT8_P12ihipStream_tbDpT10_ENKUlT_T0_E_clISt17integral_constantIbLb0EES19_EEDaS14_S15_EUlS14_E_NS1_11comp_targetILNS1_3genE4ELNS1_11target_archE910ELNS1_3gpuE8ELNS1_3repE0EEENS1_30default_config_static_selectorELNS0_4arch9wavefront6targetE1EEEvT1_,"axG",@progbits,_ZN7rocprim17ROCPRIM_400000_NS6detail17trampoline_kernelINS0_14default_configENS1_25partition_config_selectorILNS1_17partition_subalgoE9EllbEEZZNS1_14partition_implILS5_9ELb0ES3_jPKlN6thrust23THRUST_200600_302600_NS17counting_iteratorIlNSB_11use_defaultESD_SD_EEPNS0_10empty_typeENS0_5tupleIJPlSF_EEENSH_IJSI_SG_EEENS0_18inequality_wrapperIN6hipcub16HIPCUB_304000_NS8EqualityEEESI_JSF_EEE10hipError_tPvRmT3_T4_T5_T6_T7_T9_mT8_P12ihipStream_tbDpT10_ENKUlT_T0_E_clISt17integral_constantIbLb0EES19_EEDaS14_S15_EUlS14_E_NS1_11comp_targetILNS1_3genE4ELNS1_11target_archE910ELNS1_3gpuE8ELNS1_3repE0EEENS1_30default_config_static_selectorELNS0_4arch9wavefront6targetE1EEEvT1_,comdat
.Lfunc_end46:
	.size	_ZN7rocprim17ROCPRIM_400000_NS6detail17trampoline_kernelINS0_14default_configENS1_25partition_config_selectorILNS1_17partition_subalgoE9EllbEEZZNS1_14partition_implILS5_9ELb0ES3_jPKlN6thrust23THRUST_200600_302600_NS17counting_iteratorIlNSB_11use_defaultESD_SD_EEPNS0_10empty_typeENS0_5tupleIJPlSF_EEENSH_IJSI_SG_EEENS0_18inequality_wrapperIN6hipcub16HIPCUB_304000_NS8EqualityEEESI_JSF_EEE10hipError_tPvRmT3_T4_T5_T6_T7_T9_mT8_P12ihipStream_tbDpT10_ENKUlT_T0_E_clISt17integral_constantIbLb0EES19_EEDaS14_S15_EUlS14_E_NS1_11comp_targetILNS1_3genE4ELNS1_11target_archE910ELNS1_3gpuE8ELNS1_3repE0EEENS1_30default_config_static_selectorELNS0_4arch9wavefront6targetE1EEEvT1_, .Lfunc_end46-_ZN7rocprim17ROCPRIM_400000_NS6detail17trampoline_kernelINS0_14default_configENS1_25partition_config_selectorILNS1_17partition_subalgoE9EllbEEZZNS1_14partition_implILS5_9ELb0ES3_jPKlN6thrust23THRUST_200600_302600_NS17counting_iteratorIlNSB_11use_defaultESD_SD_EEPNS0_10empty_typeENS0_5tupleIJPlSF_EEENSH_IJSI_SG_EEENS0_18inequality_wrapperIN6hipcub16HIPCUB_304000_NS8EqualityEEESI_JSF_EEE10hipError_tPvRmT3_T4_T5_T6_T7_T9_mT8_P12ihipStream_tbDpT10_ENKUlT_T0_E_clISt17integral_constantIbLb0EES19_EEDaS14_S15_EUlS14_E_NS1_11comp_targetILNS1_3genE4ELNS1_11target_archE910ELNS1_3gpuE8ELNS1_3repE0EEENS1_30default_config_static_selectorELNS0_4arch9wavefront6targetE1EEEvT1_
                                        ; -- End function
	.section	.AMDGPU.csdata,"",@progbits
; Kernel info:
; codeLenInByte = 0
; NumSgprs: 6
; NumVgprs: 0
; NumAgprs: 0
; TotalNumVgprs: 0
; ScratchSize: 0
; MemoryBound: 0
; FloatMode: 240
; IeeeMode: 1
; LDSByteSize: 0 bytes/workgroup (compile time only)
; SGPRBlocks: 0
; VGPRBlocks: 0
; NumSGPRsForWavesPerEU: 6
; NumVGPRsForWavesPerEU: 1
; AccumOffset: 4
; Occupancy: 8
; WaveLimiterHint : 0
; COMPUTE_PGM_RSRC2:SCRATCH_EN: 0
; COMPUTE_PGM_RSRC2:USER_SGPR: 2
; COMPUTE_PGM_RSRC2:TRAP_HANDLER: 0
; COMPUTE_PGM_RSRC2:TGID_X_EN: 1
; COMPUTE_PGM_RSRC2:TGID_Y_EN: 0
; COMPUTE_PGM_RSRC2:TGID_Z_EN: 0
; COMPUTE_PGM_RSRC2:TIDIG_COMP_CNT: 0
; COMPUTE_PGM_RSRC3_GFX90A:ACCUM_OFFSET: 0
; COMPUTE_PGM_RSRC3_GFX90A:TG_SPLIT: 0
	.section	.text._ZN7rocprim17ROCPRIM_400000_NS6detail17trampoline_kernelINS0_14default_configENS1_25partition_config_selectorILNS1_17partition_subalgoE9EllbEEZZNS1_14partition_implILS5_9ELb0ES3_jPKlN6thrust23THRUST_200600_302600_NS17counting_iteratorIlNSB_11use_defaultESD_SD_EEPNS0_10empty_typeENS0_5tupleIJPlSF_EEENSH_IJSI_SG_EEENS0_18inequality_wrapperIN6hipcub16HIPCUB_304000_NS8EqualityEEESI_JSF_EEE10hipError_tPvRmT3_T4_T5_T6_T7_T9_mT8_P12ihipStream_tbDpT10_ENKUlT_T0_E_clISt17integral_constantIbLb0EES19_EEDaS14_S15_EUlS14_E_NS1_11comp_targetILNS1_3genE3ELNS1_11target_archE908ELNS1_3gpuE7ELNS1_3repE0EEENS1_30default_config_static_selectorELNS0_4arch9wavefront6targetE1EEEvT1_,"axG",@progbits,_ZN7rocprim17ROCPRIM_400000_NS6detail17trampoline_kernelINS0_14default_configENS1_25partition_config_selectorILNS1_17partition_subalgoE9EllbEEZZNS1_14partition_implILS5_9ELb0ES3_jPKlN6thrust23THRUST_200600_302600_NS17counting_iteratorIlNSB_11use_defaultESD_SD_EEPNS0_10empty_typeENS0_5tupleIJPlSF_EEENSH_IJSI_SG_EEENS0_18inequality_wrapperIN6hipcub16HIPCUB_304000_NS8EqualityEEESI_JSF_EEE10hipError_tPvRmT3_T4_T5_T6_T7_T9_mT8_P12ihipStream_tbDpT10_ENKUlT_T0_E_clISt17integral_constantIbLb0EES19_EEDaS14_S15_EUlS14_E_NS1_11comp_targetILNS1_3genE3ELNS1_11target_archE908ELNS1_3gpuE7ELNS1_3repE0EEENS1_30default_config_static_selectorELNS0_4arch9wavefront6targetE1EEEvT1_,comdat
	.protected	_ZN7rocprim17ROCPRIM_400000_NS6detail17trampoline_kernelINS0_14default_configENS1_25partition_config_selectorILNS1_17partition_subalgoE9EllbEEZZNS1_14partition_implILS5_9ELb0ES3_jPKlN6thrust23THRUST_200600_302600_NS17counting_iteratorIlNSB_11use_defaultESD_SD_EEPNS0_10empty_typeENS0_5tupleIJPlSF_EEENSH_IJSI_SG_EEENS0_18inequality_wrapperIN6hipcub16HIPCUB_304000_NS8EqualityEEESI_JSF_EEE10hipError_tPvRmT3_T4_T5_T6_T7_T9_mT8_P12ihipStream_tbDpT10_ENKUlT_T0_E_clISt17integral_constantIbLb0EES19_EEDaS14_S15_EUlS14_E_NS1_11comp_targetILNS1_3genE3ELNS1_11target_archE908ELNS1_3gpuE7ELNS1_3repE0EEENS1_30default_config_static_selectorELNS0_4arch9wavefront6targetE1EEEvT1_ ; -- Begin function _ZN7rocprim17ROCPRIM_400000_NS6detail17trampoline_kernelINS0_14default_configENS1_25partition_config_selectorILNS1_17partition_subalgoE9EllbEEZZNS1_14partition_implILS5_9ELb0ES3_jPKlN6thrust23THRUST_200600_302600_NS17counting_iteratorIlNSB_11use_defaultESD_SD_EEPNS0_10empty_typeENS0_5tupleIJPlSF_EEENSH_IJSI_SG_EEENS0_18inequality_wrapperIN6hipcub16HIPCUB_304000_NS8EqualityEEESI_JSF_EEE10hipError_tPvRmT3_T4_T5_T6_T7_T9_mT8_P12ihipStream_tbDpT10_ENKUlT_T0_E_clISt17integral_constantIbLb0EES19_EEDaS14_S15_EUlS14_E_NS1_11comp_targetILNS1_3genE3ELNS1_11target_archE908ELNS1_3gpuE7ELNS1_3repE0EEENS1_30default_config_static_selectorELNS0_4arch9wavefront6targetE1EEEvT1_
	.globl	_ZN7rocprim17ROCPRIM_400000_NS6detail17trampoline_kernelINS0_14default_configENS1_25partition_config_selectorILNS1_17partition_subalgoE9EllbEEZZNS1_14partition_implILS5_9ELb0ES3_jPKlN6thrust23THRUST_200600_302600_NS17counting_iteratorIlNSB_11use_defaultESD_SD_EEPNS0_10empty_typeENS0_5tupleIJPlSF_EEENSH_IJSI_SG_EEENS0_18inequality_wrapperIN6hipcub16HIPCUB_304000_NS8EqualityEEESI_JSF_EEE10hipError_tPvRmT3_T4_T5_T6_T7_T9_mT8_P12ihipStream_tbDpT10_ENKUlT_T0_E_clISt17integral_constantIbLb0EES19_EEDaS14_S15_EUlS14_E_NS1_11comp_targetILNS1_3genE3ELNS1_11target_archE908ELNS1_3gpuE7ELNS1_3repE0EEENS1_30default_config_static_selectorELNS0_4arch9wavefront6targetE1EEEvT1_
	.p2align	8
	.type	_ZN7rocprim17ROCPRIM_400000_NS6detail17trampoline_kernelINS0_14default_configENS1_25partition_config_selectorILNS1_17partition_subalgoE9EllbEEZZNS1_14partition_implILS5_9ELb0ES3_jPKlN6thrust23THRUST_200600_302600_NS17counting_iteratorIlNSB_11use_defaultESD_SD_EEPNS0_10empty_typeENS0_5tupleIJPlSF_EEENSH_IJSI_SG_EEENS0_18inequality_wrapperIN6hipcub16HIPCUB_304000_NS8EqualityEEESI_JSF_EEE10hipError_tPvRmT3_T4_T5_T6_T7_T9_mT8_P12ihipStream_tbDpT10_ENKUlT_T0_E_clISt17integral_constantIbLb0EES19_EEDaS14_S15_EUlS14_E_NS1_11comp_targetILNS1_3genE3ELNS1_11target_archE908ELNS1_3gpuE7ELNS1_3repE0EEENS1_30default_config_static_selectorELNS0_4arch9wavefront6targetE1EEEvT1_,@function
_ZN7rocprim17ROCPRIM_400000_NS6detail17trampoline_kernelINS0_14default_configENS1_25partition_config_selectorILNS1_17partition_subalgoE9EllbEEZZNS1_14partition_implILS5_9ELb0ES3_jPKlN6thrust23THRUST_200600_302600_NS17counting_iteratorIlNSB_11use_defaultESD_SD_EEPNS0_10empty_typeENS0_5tupleIJPlSF_EEENSH_IJSI_SG_EEENS0_18inequality_wrapperIN6hipcub16HIPCUB_304000_NS8EqualityEEESI_JSF_EEE10hipError_tPvRmT3_T4_T5_T6_T7_T9_mT8_P12ihipStream_tbDpT10_ENKUlT_T0_E_clISt17integral_constantIbLb0EES19_EEDaS14_S15_EUlS14_E_NS1_11comp_targetILNS1_3genE3ELNS1_11target_archE908ELNS1_3gpuE7ELNS1_3repE0EEENS1_30default_config_static_selectorELNS0_4arch9wavefront6targetE1EEEvT1_: ; @_ZN7rocprim17ROCPRIM_400000_NS6detail17trampoline_kernelINS0_14default_configENS1_25partition_config_selectorILNS1_17partition_subalgoE9EllbEEZZNS1_14partition_implILS5_9ELb0ES3_jPKlN6thrust23THRUST_200600_302600_NS17counting_iteratorIlNSB_11use_defaultESD_SD_EEPNS0_10empty_typeENS0_5tupleIJPlSF_EEENSH_IJSI_SG_EEENS0_18inequality_wrapperIN6hipcub16HIPCUB_304000_NS8EqualityEEESI_JSF_EEE10hipError_tPvRmT3_T4_T5_T6_T7_T9_mT8_P12ihipStream_tbDpT10_ENKUlT_T0_E_clISt17integral_constantIbLb0EES19_EEDaS14_S15_EUlS14_E_NS1_11comp_targetILNS1_3genE3ELNS1_11target_archE908ELNS1_3gpuE7ELNS1_3repE0EEENS1_30default_config_static_selectorELNS0_4arch9wavefront6targetE1EEEvT1_
; %bb.0:
	.section	.rodata,"a",@progbits
	.p2align	6, 0x0
	.amdhsa_kernel _ZN7rocprim17ROCPRIM_400000_NS6detail17trampoline_kernelINS0_14default_configENS1_25partition_config_selectorILNS1_17partition_subalgoE9EllbEEZZNS1_14partition_implILS5_9ELb0ES3_jPKlN6thrust23THRUST_200600_302600_NS17counting_iteratorIlNSB_11use_defaultESD_SD_EEPNS0_10empty_typeENS0_5tupleIJPlSF_EEENSH_IJSI_SG_EEENS0_18inequality_wrapperIN6hipcub16HIPCUB_304000_NS8EqualityEEESI_JSF_EEE10hipError_tPvRmT3_T4_T5_T6_T7_T9_mT8_P12ihipStream_tbDpT10_ENKUlT_T0_E_clISt17integral_constantIbLb0EES19_EEDaS14_S15_EUlS14_E_NS1_11comp_targetILNS1_3genE3ELNS1_11target_archE908ELNS1_3gpuE7ELNS1_3repE0EEENS1_30default_config_static_selectorELNS0_4arch9wavefront6targetE1EEEvT1_
		.amdhsa_group_segment_fixed_size 0
		.amdhsa_private_segment_fixed_size 0
		.amdhsa_kernarg_size 112
		.amdhsa_user_sgpr_count 2
		.amdhsa_user_sgpr_dispatch_ptr 0
		.amdhsa_user_sgpr_queue_ptr 0
		.amdhsa_user_sgpr_kernarg_segment_ptr 1
		.amdhsa_user_sgpr_dispatch_id 0
		.amdhsa_user_sgpr_kernarg_preload_length 0
		.amdhsa_user_sgpr_kernarg_preload_offset 0
		.amdhsa_user_sgpr_private_segment_size 0
		.amdhsa_uses_dynamic_stack 0
		.amdhsa_enable_private_segment 0
		.amdhsa_system_sgpr_workgroup_id_x 1
		.amdhsa_system_sgpr_workgroup_id_y 0
		.amdhsa_system_sgpr_workgroup_id_z 0
		.amdhsa_system_sgpr_workgroup_info 0
		.amdhsa_system_vgpr_workitem_id 0
		.amdhsa_next_free_vgpr 1
		.amdhsa_next_free_sgpr 0
		.amdhsa_accum_offset 4
		.amdhsa_reserve_vcc 0
		.amdhsa_float_round_mode_32 0
		.amdhsa_float_round_mode_16_64 0
		.amdhsa_float_denorm_mode_32 3
		.amdhsa_float_denorm_mode_16_64 3
		.amdhsa_dx10_clamp 1
		.amdhsa_ieee_mode 1
		.amdhsa_fp16_overflow 0
		.amdhsa_tg_split 0
		.amdhsa_exception_fp_ieee_invalid_op 0
		.amdhsa_exception_fp_denorm_src 0
		.amdhsa_exception_fp_ieee_div_zero 0
		.amdhsa_exception_fp_ieee_overflow 0
		.amdhsa_exception_fp_ieee_underflow 0
		.amdhsa_exception_fp_ieee_inexact 0
		.amdhsa_exception_int_div_zero 0
	.end_amdhsa_kernel
	.section	.text._ZN7rocprim17ROCPRIM_400000_NS6detail17trampoline_kernelINS0_14default_configENS1_25partition_config_selectorILNS1_17partition_subalgoE9EllbEEZZNS1_14partition_implILS5_9ELb0ES3_jPKlN6thrust23THRUST_200600_302600_NS17counting_iteratorIlNSB_11use_defaultESD_SD_EEPNS0_10empty_typeENS0_5tupleIJPlSF_EEENSH_IJSI_SG_EEENS0_18inequality_wrapperIN6hipcub16HIPCUB_304000_NS8EqualityEEESI_JSF_EEE10hipError_tPvRmT3_T4_T5_T6_T7_T9_mT8_P12ihipStream_tbDpT10_ENKUlT_T0_E_clISt17integral_constantIbLb0EES19_EEDaS14_S15_EUlS14_E_NS1_11comp_targetILNS1_3genE3ELNS1_11target_archE908ELNS1_3gpuE7ELNS1_3repE0EEENS1_30default_config_static_selectorELNS0_4arch9wavefront6targetE1EEEvT1_,"axG",@progbits,_ZN7rocprim17ROCPRIM_400000_NS6detail17trampoline_kernelINS0_14default_configENS1_25partition_config_selectorILNS1_17partition_subalgoE9EllbEEZZNS1_14partition_implILS5_9ELb0ES3_jPKlN6thrust23THRUST_200600_302600_NS17counting_iteratorIlNSB_11use_defaultESD_SD_EEPNS0_10empty_typeENS0_5tupleIJPlSF_EEENSH_IJSI_SG_EEENS0_18inequality_wrapperIN6hipcub16HIPCUB_304000_NS8EqualityEEESI_JSF_EEE10hipError_tPvRmT3_T4_T5_T6_T7_T9_mT8_P12ihipStream_tbDpT10_ENKUlT_T0_E_clISt17integral_constantIbLb0EES19_EEDaS14_S15_EUlS14_E_NS1_11comp_targetILNS1_3genE3ELNS1_11target_archE908ELNS1_3gpuE7ELNS1_3repE0EEENS1_30default_config_static_selectorELNS0_4arch9wavefront6targetE1EEEvT1_,comdat
.Lfunc_end47:
	.size	_ZN7rocprim17ROCPRIM_400000_NS6detail17trampoline_kernelINS0_14default_configENS1_25partition_config_selectorILNS1_17partition_subalgoE9EllbEEZZNS1_14partition_implILS5_9ELb0ES3_jPKlN6thrust23THRUST_200600_302600_NS17counting_iteratorIlNSB_11use_defaultESD_SD_EEPNS0_10empty_typeENS0_5tupleIJPlSF_EEENSH_IJSI_SG_EEENS0_18inequality_wrapperIN6hipcub16HIPCUB_304000_NS8EqualityEEESI_JSF_EEE10hipError_tPvRmT3_T4_T5_T6_T7_T9_mT8_P12ihipStream_tbDpT10_ENKUlT_T0_E_clISt17integral_constantIbLb0EES19_EEDaS14_S15_EUlS14_E_NS1_11comp_targetILNS1_3genE3ELNS1_11target_archE908ELNS1_3gpuE7ELNS1_3repE0EEENS1_30default_config_static_selectorELNS0_4arch9wavefront6targetE1EEEvT1_, .Lfunc_end47-_ZN7rocprim17ROCPRIM_400000_NS6detail17trampoline_kernelINS0_14default_configENS1_25partition_config_selectorILNS1_17partition_subalgoE9EllbEEZZNS1_14partition_implILS5_9ELb0ES3_jPKlN6thrust23THRUST_200600_302600_NS17counting_iteratorIlNSB_11use_defaultESD_SD_EEPNS0_10empty_typeENS0_5tupleIJPlSF_EEENSH_IJSI_SG_EEENS0_18inequality_wrapperIN6hipcub16HIPCUB_304000_NS8EqualityEEESI_JSF_EEE10hipError_tPvRmT3_T4_T5_T6_T7_T9_mT8_P12ihipStream_tbDpT10_ENKUlT_T0_E_clISt17integral_constantIbLb0EES19_EEDaS14_S15_EUlS14_E_NS1_11comp_targetILNS1_3genE3ELNS1_11target_archE908ELNS1_3gpuE7ELNS1_3repE0EEENS1_30default_config_static_selectorELNS0_4arch9wavefront6targetE1EEEvT1_
                                        ; -- End function
	.section	.AMDGPU.csdata,"",@progbits
; Kernel info:
; codeLenInByte = 0
; NumSgprs: 6
; NumVgprs: 0
; NumAgprs: 0
; TotalNumVgprs: 0
; ScratchSize: 0
; MemoryBound: 0
; FloatMode: 240
; IeeeMode: 1
; LDSByteSize: 0 bytes/workgroup (compile time only)
; SGPRBlocks: 0
; VGPRBlocks: 0
; NumSGPRsForWavesPerEU: 6
; NumVGPRsForWavesPerEU: 1
; AccumOffset: 4
; Occupancy: 8
; WaveLimiterHint : 0
; COMPUTE_PGM_RSRC2:SCRATCH_EN: 0
; COMPUTE_PGM_RSRC2:USER_SGPR: 2
; COMPUTE_PGM_RSRC2:TRAP_HANDLER: 0
; COMPUTE_PGM_RSRC2:TGID_X_EN: 1
; COMPUTE_PGM_RSRC2:TGID_Y_EN: 0
; COMPUTE_PGM_RSRC2:TGID_Z_EN: 0
; COMPUTE_PGM_RSRC2:TIDIG_COMP_CNT: 0
; COMPUTE_PGM_RSRC3_GFX90A:ACCUM_OFFSET: 0
; COMPUTE_PGM_RSRC3_GFX90A:TG_SPLIT: 0
	.section	.text._ZN7rocprim17ROCPRIM_400000_NS6detail17trampoline_kernelINS0_14default_configENS1_25partition_config_selectorILNS1_17partition_subalgoE9EllbEEZZNS1_14partition_implILS5_9ELb0ES3_jPKlN6thrust23THRUST_200600_302600_NS17counting_iteratorIlNSB_11use_defaultESD_SD_EEPNS0_10empty_typeENS0_5tupleIJPlSF_EEENSH_IJSI_SG_EEENS0_18inequality_wrapperIN6hipcub16HIPCUB_304000_NS8EqualityEEESI_JSF_EEE10hipError_tPvRmT3_T4_T5_T6_T7_T9_mT8_P12ihipStream_tbDpT10_ENKUlT_T0_E_clISt17integral_constantIbLb0EES19_EEDaS14_S15_EUlS14_E_NS1_11comp_targetILNS1_3genE2ELNS1_11target_archE906ELNS1_3gpuE6ELNS1_3repE0EEENS1_30default_config_static_selectorELNS0_4arch9wavefront6targetE1EEEvT1_,"axG",@progbits,_ZN7rocprim17ROCPRIM_400000_NS6detail17trampoline_kernelINS0_14default_configENS1_25partition_config_selectorILNS1_17partition_subalgoE9EllbEEZZNS1_14partition_implILS5_9ELb0ES3_jPKlN6thrust23THRUST_200600_302600_NS17counting_iteratorIlNSB_11use_defaultESD_SD_EEPNS0_10empty_typeENS0_5tupleIJPlSF_EEENSH_IJSI_SG_EEENS0_18inequality_wrapperIN6hipcub16HIPCUB_304000_NS8EqualityEEESI_JSF_EEE10hipError_tPvRmT3_T4_T5_T6_T7_T9_mT8_P12ihipStream_tbDpT10_ENKUlT_T0_E_clISt17integral_constantIbLb0EES19_EEDaS14_S15_EUlS14_E_NS1_11comp_targetILNS1_3genE2ELNS1_11target_archE906ELNS1_3gpuE6ELNS1_3repE0EEENS1_30default_config_static_selectorELNS0_4arch9wavefront6targetE1EEEvT1_,comdat
	.protected	_ZN7rocprim17ROCPRIM_400000_NS6detail17trampoline_kernelINS0_14default_configENS1_25partition_config_selectorILNS1_17partition_subalgoE9EllbEEZZNS1_14partition_implILS5_9ELb0ES3_jPKlN6thrust23THRUST_200600_302600_NS17counting_iteratorIlNSB_11use_defaultESD_SD_EEPNS0_10empty_typeENS0_5tupleIJPlSF_EEENSH_IJSI_SG_EEENS0_18inequality_wrapperIN6hipcub16HIPCUB_304000_NS8EqualityEEESI_JSF_EEE10hipError_tPvRmT3_T4_T5_T6_T7_T9_mT8_P12ihipStream_tbDpT10_ENKUlT_T0_E_clISt17integral_constantIbLb0EES19_EEDaS14_S15_EUlS14_E_NS1_11comp_targetILNS1_3genE2ELNS1_11target_archE906ELNS1_3gpuE6ELNS1_3repE0EEENS1_30default_config_static_selectorELNS0_4arch9wavefront6targetE1EEEvT1_ ; -- Begin function _ZN7rocprim17ROCPRIM_400000_NS6detail17trampoline_kernelINS0_14default_configENS1_25partition_config_selectorILNS1_17partition_subalgoE9EllbEEZZNS1_14partition_implILS5_9ELb0ES3_jPKlN6thrust23THRUST_200600_302600_NS17counting_iteratorIlNSB_11use_defaultESD_SD_EEPNS0_10empty_typeENS0_5tupleIJPlSF_EEENSH_IJSI_SG_EEENS0_18inequality_wrapperIN6hipcub16HIPCUB_304000_NS8EqualityEEESI_JSF_EEE10hipError_tPvRmT3_T4_T5_T6_T7_T9_mT8_P12ihipStream_tbDpT10_ENKUlT_T0_E_clISt17integral_constantIbLb0EES19_EEDaS14_S15_EUlS14_E_NS1_11comp_targetILNS1_3genE2ELNS1_11target_archE906ELNS1_3gpuE6ELNS1_3repE0EEENS1_30default_config_static_selectorELNS0_4arch9wavefront6targetE1EEEvT1_
	.globl	_ZN7rocprim17ROCPRIM_400000_NS6detail17trampoline_kernelINS0_14default_configENS1_25partition_config_selectorILNS1_17partition_subalgoE9EllbEEZZNS1_14partition_implILS5_9ELb0ES3_jPKlN6thrust23THRUST_200600_302600_NS17counting_iteratorIlNSB_11use_defaultESD_SD_EEPNS0_10empty_typeENS0_5tupleIJPlSF_EEENSH_IJSI_SG_EEENS0_18inequality_wrapperIN6hipcub16HIPCUB_304000_NS8EqualityEEESI_JSF_EEE10hipError_tPvRmT3_T4_T5_T6_T7_T9_mT8_P12ihipStream_tbDpT10_ENKUlT_T0_E_clISt17integral_constantIbLb0EES19_EEDaS14_S15_EUlS14_E_NS1_11comp_targetILNS1_3genE2ELNS1_11target_archE906ELNS1_3gpuE6ELNS1_3repE0EEENS1_30default_config_static_selectorELNS0_4arch9wavefront6targetE1EEEvT1_
	.p2align	8
	.type	_ZN7rocprim17ROCPRIM_400000_NS6detail17trampoline_kernelINS0_14default_configENS1_25partition_config_selectorILNS1_17partition_subalgoE9EllbEEZZNS1_14partition_implILS5_9ELb0ES3_jPKlN6thrust23THRUST_200600_302600_NS17counting_iteratorIlNSB_11use_defaultESD_SD_EEPNS0_10empty_typeENS0_5tupleIJPlSF_EEENSH_IJSI_SG_EEENS0_18inequality_wrapperIN6hipcub16HIPCUB_304000_NS8EqualityEEESI_JSF_EEE10hipError_tPvRmT3_T4_T5_T6_T7_T9_mT8_P12ihipStream_tbDpT10_ENKUlT_T0_E_clISt17integral_constantIbLb0EES19_EEDaS14_S15_EUlS14_E_NS1_11comp_targetILNS1_3genE2ELNS1_11target_archE906ELNS1_3gpuE6ELNS1_3repE0EEENS1_30default_config_static_selectorELNS0_4arch9wavefront6targetE1EEEvT1_,@function
_ZN7rocprim17ROCPRIM_400000_NS6detail17trampoline_kernelINS0_14default_configENS1_25partition_config_selectorILNS1_17partition_subalgoE9EllbEEZZNS1_14partition_implILS5_9ELb0ES3_jPKlN6thrust23THRUST_200600_302600_NS17counting_iteratorIlNSB_11use_defaultESD_SD_EEPNS0_10empty_typeENS0_5tupleIJPlSF_EEENSH_IJSI_SG_EEENS0_18inequality_wrapperIN6hipcub16HIPCUB_304000_NS8EqualityEEESI_JSF_EEE10hipError_tPvRmT3_T4_T5_T6_T7_T9_mT8_P12ihipStream_tbDpT10_ENKUlT_T0_E_clISt17integral_constantIbLb0EES19_EEDaS14_S15_EUlS14_E_NS1_11comp_targetILNS1_3genE2ELNS1_11target_archE906ELNS1_3gpuE6ELNS1_3repE0EEENS1_30default_config_static_selectorELNS0_4arch9wavefront6targetE1EEEvT1_: ; @_ZN7rocprim17ROCPRIM_400000_NS6detail17trampoline_kernelINS0_14default_configENS1_25partition_config_selectorILNS1_17partition_subalgoE9EllbEEZZNS1_14partition_implILS5_9ELb0ES3_jPKlN6thrust23THRUST_200600_302600_NS17counting_iteratorIlNSB_11use_defaultESD_SD_EEPNS0_10empty_typeENS0_5tupleIJPlSF_EEENSH_IJSI_SG_EEENS0_18inequality_wrapperIN6hipcub16HIPCUB_304000_NS8EqualityEEESI_JSF_EEE10hipError_tPvRmT3_T4_T5_T6_T7_T9_mT8_P12ihipStream_tbDpT10_ENKUlT_T0_E_clISt17integral_constantIbLb0EES19_EEDaS14_S15_EUlS14_E_NS1_11comp_targetILNS1_3genE2ELNS1_11target_archE906ELNS1_3gpuE6ELNS1_3repE0EEENS1_30default_config_static_selectorELNS0_4arch9wavefront6targetE1EEEvT1_
; %bb.0:
	.section	.rodata,"a",@progbits
	.p2align	6, 0x0
	.amdhsa_kernel _ZN7rocprim17ROCPRIM_400000_NS6detail17trampoline_kernelINS0_14default_configENS1_25partition_config_selectorILNS1_17partition_subalgoE9EllbEEZZNS1_14partition_implILS5_9ELb0ES3_jPKlN6thrust23THRUST_200600_302600_NS17counting_iteratorIlNSB_11use_defaultESD_SD_EEPNS0_10empty_typeENS0_5tupleIJPlSF_EEENSH_IJSI_SG_EEENS0_18inequality_wrapperIN6hipcub16HIPCUB_304000_NS8EqualityEEESI_JSF_EEE10hipError_tPvRmT3_T4_T5_T6_T7_T9_mT8_P12ihipStream_tbDpT10_ENKUlT_T0_E_clISt17integral_constantIbLb0EES19_EEDaS14_S15_EUlS14_E_NS1_11comp_targetILNS1_3genE2ELNS1_11target_archE906ELNS1_3gpuE6ELNS1_3repE0EEENS1_30default_config_static_selectorELNS0_4arch9wavefront6targetE1EEEvT1_
		.amdhsa_group_segment_fixed_size 0
		.amdhsa_private_segment_fixed_size 0
		.amdhsa_kernarg_size 112
		.amdhsa_user_sgpr_count 2
		.amdhsa_user_sgpr_dispatch_ptr 0
		.amdhsa_user_sgpr_queue_ptr 0
		.amdhsa_user_sgpr_kernarg_segment_ptr 1
		.amdhsa_user_sgpr_dispatch_id 0
		.amdhsa_user_sgpr_kernarg_preload_length 0
		.amdhsa_user_sgpr_kernarg_preload_offset 0
		.amdhsa_user_sgpr_private_segment_size 0
		.amdhsa_uses_dynamic_stack 0
		.amdhsa_enable_private_segment 0
		.amdhsa_system_sgpr_workgroup_id_x 1
		.amdhsa_system_sgpr_workgroup_id_y 0
		.amdhsa_system_sgpr_workgroup_id_z 0
		.amdhsa_system_sgpr_workgroup_info 0
		.amdhsa_system_vgpr_workitem_id 0
		.amdhsa_next_free_vgpr 1
		.amdhsa_next_free_sgpr 0
		.amdhsa_accum_offset 4
		.amdhsa_reserve_vcc 0
		.amdhsa_float_round_mode_32 0
		.amdhsa_float_round_mode_16_64 0
		.amdhsa_float_denorm_mode_32 3
		.amdhsa_float_denorm_mode_16_64 3
		.amdhsa_dx10_clamp 1
		.amdhsa_ieee_mode 1
		.amdhsa_fp16_overflow 0
		.amdhsa_tg_split 0
		.amdhsa_exception_fp_ieee_invalid_op 0
		.amdhsa_exception_fp_denorm_src 0
		.amdhsa_exception_fp_ieee_div_zero 0
		.amdhsa_exception_fp_ieee_overflow 0
		.amdhsa_exception_fp_ieee_underflow 0
		.amdhsa_exception_fp_ieee_inexact 0
		.amdhsa_exception_int_div_zero 0
	.end_amdhsa_kernel
	.section	.text._ZN7rocprim17ROCPRIM_400000_NS6detail17trampoline_kernelINS0_14default_configENS1_25partition_config_selectorILNS1_17partition_subalgoE9EllbEEZZNS1_14partition_implILS5_9ELb0ES3_jPKlN6thrust23THRUST_200600_302600_NS17counting_iteratorIlNSB_11use_defaultESD_SD_EEPNS0_10empty_typeENS0_5tupleIJPlSF_EEENSH_IJSI_SG_EEENS0_18inequality_wrapperIN6hipcub16HIPCUB_304000_NS8EqualityEEESI_JSF_EEE10hipError_tPvRmT3_T4_T5_T6_T7_T9_mT8_P12ihipStream_tbDpT10_ENKUlT_T0_E_clISt17integral_constantIbLb0EES19_EEDaS14_S15_EUlS14_E_NS1_11comp_targetILNS1_3genE2ELNS1_11target_archE906ELNS1_3gpuE6ELNS1_3repE0EEENS1_30default_config_static_selectorELNS0_4arch9wavefront6targetE1EEEvT1_,"axG",@progbits,_ZN7rocprim17ROCPRIM_400000_NS6detail17trampoline_kernelINS0_14default_configENS1_25partition_config_selectorILNS1_17partition_subalgoE9EllbEEZZNS1_14partition_implILS5_9ELb0ES3_jPKlN6thrust23THRUST_200600_302600_NS17counting_iteratorIlNSB_11use_defaultESD_SD_EEPNS0_10empty_typeENS0_5tupleIJPlSF_EEENSH_IJSI_SG_EEENS0_18inequality_wrapperIN6hipcub16HIPCUB_304000_NS8EqualityEEESI_JSF_EEE10hipError_tPvRmT3_T4_T5_T6_T7_T9_mT8_P12ihipStream_tbDpT10_ENKUlT_T0_E_clISt17integral_constantIbLb0EES19_EEDaS14_S15_EUlS14_E_NS1_11comp_targetILNS1_3genE2ELNS1_11target_archE906ELNS1_3gpuE6ELNS1_3repE0EEENS1_30default_config_static_selectorELNS0_4arch9wavefront6targetE1EEEvT1_,comdat
.Lfunc_end48:
	.size	_ZN7rocprim17ROCPRIM_400000_NS6detail17trampoline_kernelINS0_14default_configENS1_25partition_config_selectorILNS1_17partition_subalgoE9EllbEEZZNS1_14partition_implILS5_9ELb0ES3_jPKlN6thrust23THRUST_200600_302600_NS17counting_iteratorIlNSB_11use_defaultESD_SD_EEPNS0_10empty_typeENS0_5tupleIJPlSF_EEENSH_IJSI_SG_EEENS0_18inequality_wrapperIN6hipcub16HIPCUB_304000_NS8EqualityEEESI_JSF_EEE10hipError_tPvRmT3_T4_T5_T6_T7_T9_mT8_P12ihipStream_tbDpT10_ENKUlT_T0_E_clISt17integral_constantIbLb0EES19_EEDaS14_S15_EUlS14_E_NS1_11comp_targetILNS1_3genE2ELNS1_11target_archE906ELNS1_3gpuE6ELNS1_3repE0EEENS1_30default_config_static_selectorELNS0_4arch9wavefront6targetE1EEEvT1_, .Lfunc_end48-_ZN7rocprim17ROCPRIM_400000_NS6detail17trampoline_kernelINS0_14default_configENS1_25partition_config_selectorILNS1_17partition_subalgoE9EllbEEZZNS1_14partition_implILS5_9ELb0ES3_jPKlN6thrust23THRUST_200600_302600_NS17counting_iteratorIlNSB_11use_defaultESD_SD_EEPNS0_10empty_typeENS0_5tupleIJPlSF_EEENSH_IJSI_SG_EEENS0_18inequality_wrapperIN6hipcub16HIPCUB_304000_NS8EqualityEEESI_JSF_EEE10hipError_tPvRmT3_T4_T5_T6_T7_T9_mT8_P12ihipStream_tbDpT10_ENKUlT_T0_E_clISt17integral_constantIbLb0EES19_EEDaS14_S15_EUlS14_E_NS1_11comp_targetILNS1_3genE2ELNS1_11target_archE906ELNS1_3gpuE6ELNS1_3repE0EEENS1_30default_config_static_selectorELNS0_4arch9wavefront6targetE1EEEvT1_
                                        ; -- End function
	.section	.AMDGPU.csdata,"",@progbits
; Kernel info:
; codeLenInByte = 0
; NumSgprs: 6
; NumVgprs: 0
; NumAgprs: 0
; TotalNumVgprs: 0
; ScratchSize: 0
; MemoryBound: 0
; FloatMode: 240
; IeeeMode: 1
; LDSByteSize: 0 bytes/workgroup (compile time only)
; SGPRBlocks: 0
; VGPRBlocks: 0
; NumSGPRsForWavesPerEU: 6
; NumVGPRsForWavesPerEU: 1
; AccumOffset: 4
; Occupancy: 8
; WaveLimiterHint : 0
; COMPUTE_PGM_RSRC2:SCRATCH_EN: 0
; COMPUTE_PGM_RSRC2:USER_SGPR: 2
; COMPUTE_PGM_RSRC2:TRAP_HANDLER: 0
; COMPUTE_PGM_RSRC2:TGID_X_EN: 1
; COMPUTE_PGM_RSRC2:TGID_Y_EN: 0
; COMPUTE_PGM_RSRC2:TGID_Z_EN: 0
; COMPUTE_PGM_RSRC2:TIDIG_COMP_CNT: 0
; COMPUTE_PGM_RSRC3_GFX90A:ACCUM_OFFSET: 0
; COMPUTE_PGM_RSRC3_GFX90A:TG_SPLIT: 0
	.section	.text._ZN7rocprim17ROCPRIM_400000_NS6detail17trampoline_kernelINS0_14default_configENS1_25partition_config_selectorILNS1_17partition_subalgoE9EllbEEZZNS1_14partition_implILS5_9ELb0ES3_jPKlN6thrust23THRUST_200600_302600_NS17counting_iteratorIlNSB_11use_defaultESD_SD_EEPNS0_10empty_typeENS0_5tupleIJPlSF_EEENSH_IJSI_SG_EEENS0_18inequality_wrapperIN6hipcub16HIPCUB_304000_NS8EqualityEEESI_JSF_EEE10hipError_tPvRmT3_T4_T5_T6_T7_T9_mT8_P12ihipStream_tbDpT10_ENKUlT_T0_E_clISt17integral_constantIbLb0EES19_EEDaS14_S15_EUlS14_E_NS1_11comp_targetILNS1_3genE10ELNS1_11target_archE1200ELNS1_3gpuE4ELNS1_3repE0EEENS1_30default_config_static_selectorELNS0_4arch9wavefront6targetE1EEEvT1_,"axG",@progbits,_ZN7rocprim17ROCPRIM_400000_NS6detail17trampoline_kernelINS0_14default_configENS1_25partition_config_selectorILNS1_17partition_subalgoE9EllbEEZZNS1_14partition_implILS5_9ELb0ES3_jPKlN6thrust23THRUST_200600_302600_NS17counting_iteratorIlNSB_11use_defaultESD_SD_EEPNS0_10empty_typeENS0_5tupleIJPlSF_EEENSH_IJSI_SG_EEENS0_18inequality_wrapperIN6hipcub16HIPCUB_304000_NS8EqualityEEESI_JSF_EEE10hipError_tPvRmT3_T4_T5_T6_T7_T9_mT8_P12ihipStream_tbDpT10_ENKUlT_T0_E_clISt17integral_constantIbLb0EES19_EEDaS14_S15_EUlS14_E_NS1_11comp_targetILNS1_3genE10ELNS1_11target_archE1200ELNS1_3gpuE4ELNS1_3repE0EEENS1_30default_config_static_selectorELNS0_4arch9wavefront6targetE1EEEvT1_,comdat
	.protected	_ZN7rocprim17ROCPRIM_400000_NS6detail17trampoline_kernelINS0_14default_configENS1_25partition_config_selectorILNS1_17partition_subalgoE9EllbEEZZNS1_14partition_implILS5_9ELb0ES3_jPKlN6thrust23THRUST_200600_302600_NS17counting_iteratorIlNSB_11use_defaultESD_SD_EEPNS0_10empty_typeENS0_5tupleIJPlSF_EEENSH_IJSI_SG_EEENS0_18inequality_wrapperIN6hipcub16HIPCUB_304000_NS8EqualityEEESI_JSF_EEE10hipError_tPvRmT3_T4_T5_T6_T7_T9_mT8_P12ihipStream_tbDpT10_ENKUlT_T0_E_clISt17integral_constantIbLb0EES19_EEDaS14_S15_EUlS14_E_NS1_11comp_targetILNS1_3genE10ELNS1_11target_archE1200ELNS1_3gpuE4ELNS1_3repE0EEENS1_30default_config_static_selectorELNS0_4arch9wavefront6targetE1EEEvT1_ ; -- Begin function _ZN7rocprim17ROCPRIM_400000_NS6detail17trampoline_kernelINS0_14default_configENS1_25partition_config_selectorILNS1_17partition_subalgoE9EllbEEZZNS1_14partition_implILS5_9ELb0ES3_jPKlN6thrust23THRUST_200600_302600_NS17counting_iteratorIlNSB_11use_defaultESD_SD_EEPNS0_10empty_typeENS0_5tupleIJPlSF_EEENSH_IJSI_SG_EEENS0_18inequality_wrapperIN6hipcub16HIPCUB_304000_NS8EqualityEEESI_JSF_EEE10hipError_tPvRmT3_T4_T5_T6_T7_T9_mT8_P12ihipStream_tbDpT10_ENKUlT_T0_E_clISt17integral_constantIbLb0EES19_EEDaS14_S15_EUlS14_E_NS1_11comp_targetILNS1_3genE10ELNS1_11target_archE1200ELNS1_3gpuE4ELNS1_3repE0EEENS1_30default_config_static_selectorELNS0_4arch9wavefront6targetE1EEEvT1_
	.globl	_ZN7rocprim17ROCPRIM_400000_NS6detail17trampoline_kernelINS0_14default_configENS1_25partition_config_selectorILNS1_17partition_subalgoE9EllbEEZZNS1_14partition_implILS5_9ELb0ES3_jPKlN6thrust23THRUST_200600_302600_NS17counting_iteratorIlNSB_11use_defaultESD_SD_EEPNS0_10empty_typeENS0_5tupleIJPlSF_EEENSH_IJSI_SG_EEENS0_18inequality_wrapperIN6hipcub16HIPCUB_304000_NS8EqualityEEESI_JSF_EEE10hipError_tPvRmT3_T4_T5_T6_T7_T9_mT8_P12ihipStream_tbDpT10_ENKUlT_T0_E_clISt17integral_constantIbLb0EES19_EEDaS14_S15_EUlS14_E_NS1_11comp_targetILNS1_3genE10ELNS1_11target_archE1200ELNS1_3gpuE4ELNS1_3repE0EEENS1_30default_config_static_selectorELNS0_4arch9wavefront6targetE1EEEvT1_
	.p2align	8
	.type	_ZN7rocprim17ROCPRIM_400000_NS6detail17trampoline_kernelINS0_14default_configENS1_25partition_config_selectorILNS1_17partition_subalgoE9EllbEEZZNS1_14partition_implILS5_9ELb0ES3_jPKlN6thrust23THRUST_200600_302600_NS17counting_iteratorIlNSB_11use_defaultESD_SD_EEPNS0_10empty_typeENS0_5tupleIJPlSF_EEENSH_IJSI_SG_EEENS0_18inequality_wrapperIN6hipcub16HIPCUB_304000_NS8EqualityEEESI_JSF_EEE10hipError_tPvRmT3_T4_T5_T6_T7_T9_mT8_P12ihipStream_tbDpT10_ENKUlT_T0_E_clISt17integral_constantIbLb0EES19_EEDaS14_S15_EUlS14_E_NS1_11comp_targetILNS1_3genE10ELNS1_11target_archE1200ELNS1_3gpuE4ELNS1_3repE0EEENS1_30default_config_static_selectorELNS0_4arch9wavefront6targetE1EEEvT1_,@function
_ZN7rocprim17ROCPRIM_400000_NS6detail17trampoline_kernelINS0_14default_configENS1_25partition_config_selectorILNS1_17partition_subalgoE9EllbEEZZNS1_14partition_implILS5_9ELb0ES3_jPKlN6thrust23THRUST_200600_302600_NS17counting_iteratorIlNSB_11use_defaultESD_SD_EEPNS0_10empty_typeENS0_5tupleIJPlSF_EEENSH_IJSI_SG_EEENS0_18inequality_wrapperIN6hipcub16HIPCUB_304000_NS8EqualityEEESI_JSF_EEE10hipError_tPvRmT3_T4_T5_T6_T7_T9_mT8_P12ihipStream_tbDpT10_ENKUlT_T0_E_clISt17integral_constantIbLb0EES19_EEDaS14_S15_EUlS14_E_NS1_11comp_targetILNS1_3genE10ELNS1_11target_archE1200ELNS1_3gpuE4ELNS1_3repE0EEENS1_30default_config_static_selectorELNS0_4arch9wavefront6targetE1EEEvT1_: ; @_ZN7rocprim17ROCPRIM_400000_NS6detail17trampoline_kernelINS0_14default_configENS1_25partition_config_selectorILNS1_17partition_subalgoE9EllbEEZZNS1_14partition_implILS5_9ELb0ES3_jPKlN6thrust23THRUST_200600_302600_NS17counting_iteratorIlNSB_11use_defaultESD_SD_EEPNS0_10empty_typeENS0_5tupleIJPlSF_EEENSH_IJSI_SG_EEENS0_18inequality_wrapperIN6hipcub16HIPCUB_304000_NS8EqualityEEESI_JSF_EEE10hipError_tPvRmT3_T4_T5_T6_T7_T9_mT8_P12ihipStream_tbDpT10_ENKUlT_T0_E_clISt17integral_constantIbLb0EES19_EEDaS14_S15_EUlS14_E_NS1_11comp_targetILNS1_3genE10ELNS1_11target_archE1200ELNS1_3gpuE4ELNS1_3repE0EEENS1_30default_config_static_selectorELNS0_4arch9wavefront6targetE1EEEvT1_
; %bb.0:
	.section	.rodata,"a",@progbits
	.p2align	6, 0x0
	.amdhsa_kernel _ZN7rocprim17ROCPRIM_400000_NS6detail17trampoline_kernelINS0_14default_configENS1_25partition_config_selectorILNS1_17partition_subalgoE9EllbEEZZNS1_14partition_implILS5_9ELb0ES3_jPKlN6thrust23THRUST_200600_302600_NS17counting_iteratorIlNSB_11use_defaultESD_SD_EEPNS0_10empty_typeENS0_5tupleIJPlSF_EEENSH_IJSI_SG_EEENS0_18inequality_wrapperIN6hipcub16HIPCUB_304000_NS8EqualityEEESI_JSF_EEE10hipError_tPvRmT3_T4_T5_T6_T7_T9_mT8_P12ihipStream_tbDpT10_ENKUlT_T0_E_clISt17integral_constantIbLb0EES19_EEDaS14_S15_EUlS14_E_NS1_11comp_targetILNS1_3genE10ELNS1_11target_archE1200ELNS1_3gpuE4ELNS1_3repE0EEENS1_30default_config_static_selectorELNS0_4arch9wavefront6targetE1EEEvT1_
		.amdhsa_group_segment_fixed_size 0
		.amdhsa_private_segment_fixed_size 0
		.amdhsa_kernarg_size 112
		.amdhsa_user_sgpr_count 2
		.amdhsa_user_sgpr_dispatch_ptr 0
		.amdhsa_user_sgpr_queue_ptr 0
		.amdhsa_user_sgpr_kernarg_segment_ptr 1
		.amdhsa_user_sgpr_dispatch_id 0
		.amdhsa_user_sgpr_kernarg_preload_length 0
		.amdhsa_user_sgpr_kernarg_preload_offset 0
		.amdhsa_user_sgpr_private_segment_size 0
		.amdhsa_uses_dynamic_stack 0
		.amdhsa_enable_private_segment 0
		.amdhsa_system_sgpr_workgroup_id_x 1
		.amdhsa_system_sgpr_workgroup_id_y 0
		.amdhsa_system_sgpr_workgroup_id_z 0
		.amdhsa_system_sgpr_workgroup_info 0
		.amdhsa_system_vgpr_workitem_id 0
		.amdhsa_next_free_vgpr 1
		.amdhsa_next_free_sgpr 0
		.amdhsa_accum_offset 4
		.amdhsa_reserve_vcc 0
		.amdhsa_float_round_mode_32 0
		.amdhsa_float_round_mode_16_64 0
		.amdhsa_float_denorm_mode_32 3
		.amdhsa_float_denorm_mode_16_64 3
		.amdhsa_dx10_clamp 1
		.amdhsa_ieee_mode 1
		.amdhsa_fp16_overflow 0
		.amdhsa_tg_split 0
		.amdhsa_exception_fp_ieee_invalid_op 0
		.amdhsa_exception_fp_denorm_src 0
		.amdhsa_exception_fp_ieee_div_zero 0
		.amdhsa_exception_fp_ieee_overflow 0
		.amdhsa_exception_fp_ieee_underflow 0
		.amdhsa_exception_fp_ieee_inexact 0
		.amdhsa_exception_int_div_zero 0
	.end_amdhsa_kernel
	.section	.text._ZN7rocprim17ROCPRIM_400000_NS6detail17trampoline_kernelINS0_14default_configENS1_25partition_config_selectorILNS1_17partition_subalgoE9EllbEEZZNS1_14partition_implILS5_9ELb0ES3_jPKlN6thrust23THRUST_200600_302600_NS17counting_iteratorIlNSB_11use_defaultESD_SD_EEPNS0_10empty_typeENS0_5tupleIJPlSF_EEENSH_IJSI_SG_EEENS0_18inequality_wrapperIN6hipcub16HIPCUB_304000_NS8EqualityEEESI_JSF_EEE10hipError_tPvRmT3_T4_T5_T6_T7_T9_mT8_P12ihipStream_tbDpT10_ENKUlT_T0_E_clISt17integral_constantIbLb0EES19_EEDaS14_S15_EUlS14_E_NS1_11comp_targetILNS1_3genE10ELNS1_11target_archE1200ELNS1_3gpuE4ELNS1_3repE0EEENS1_30default_config_static_selectorELNS0_4arch9wavefront6targetE1EEEvT1_,"axG",@progbits,_ZN7rocprim17ROCPRIM_400000_NS6detail17trampoline_kernelINS0_14default_configENS1_25partition_config_selectorILNS1_17partition_subalgoE9EllbEEZZNS1_14partition_implILS5_9ELb0ES3_jPKlN6thrust23THRUST_200600_302600_NS17counting_iteratorIlNSB_11use_defaultESD_SD_EEPNS0_10empty_typeENS0_5tupleIJPlSF_EEENSH_IJSI_SG_EEENS0_18inequality_wrapperIN6hipcub16HIPCUB_304000_NS8EqualityEEESI_JSF_EEE10hipError_tPvRmT3_T4_T5_T6_T7_T9_mT8_P12ihipStream_tbDpT10_ENKUlT_T0_E_clISt17integral_constantIbLb0EES19_EEDaS14_S15_EUlS14_E_NS1_11comp_targetILNS1_3genE10ELNS1_11target_archE1200ELNS1_3gpuE4ELNS1_3repE0EEENS1_30default_config_static_selectorELNS0_4arch9wavefront6targetE1EEEvT1_,comdat
.Lfunc_end49:
	.size	_ZN7rocprim17ROCPRIM_400000_NS6detail17trampoline_kernelINS0_14default_configENS1_25partition_config_selectorILNS1_17partition_subalgoE9EllbEEZZNS1_14partition_implILS5_9ELb0ES3_jPKlN6thrust23THRUST_200600_302600_NS17counting_iteratorIlNSB_11use_defaultESD_SD_EEPNS0_10empty_typeENS0_5tupleIJPlSF_EEENSH_IJSI_SG_EEENS0_18inequality_wrapperIN6hipcub16HIPCUB_304000_NS8EqualityEEESI_JSF_EEE10hipError_tPvRmT3_T4_T5_T6_T7_T9_mT8_P12ihipStream_tbDpT10_ENKUlT_T0_E_clISt17integral_constantIbLb0EES19_EEDaS14_S15_EUlS14_E_NS1_11comp_targetILNS1_3genE10ELNS1_11target_archE1200ELNS1_3gpuE4ELNS1_3repE0EEENS1_30default_config_static_selectorELNS0_4arch9wavefront6targetE1EEEvT1_, .Lfunc_end49-_ZN7rocprim17ROCPRIM_400000_NS6detail17trampoline_kernelINS0_14default_configENS1_25partition_config_selectorILNS1_17partition_subalgoE9EllbEEZZNS1_14partition_implILS5_9ELb0ES3_jPKlN6thrust23THRUST_200600_302600_NS17counting_iteratorIlNSB_11use_defaultESD_SD_EEPNS0_10empty_typeENS0_5tupleIJPlSF_EEENSH_IJSI_SG_EEENS0_18inequality_wrapperIN6hipcub16HIPCUB_304000_NS8EqualityEEESI_JSF_EEE10hipError_tPvRmT3_T4_T5_T6_T7_T9_mT8_P12ihipStream_tbDpT10_ENKUlT_T0_E_clISt17integral_constantIbLb0EES19_EEDaS14_S15_EUlS14_E_NS1_11comp_targetILNS1_3genE10ELNS1_11target_archE1200ELNS1_3gpuE4ELNS1_3repE0EEENS1_30default_config_static_selectorELNS0_4arch9wavefront6targetE1EEEvT1_
                                        ; -- End function
	.section	.AMDGPU.csdata,"",@progbits
; Kernel info:
; codeLenInByte = 0
; NumSgprs: 6
; NumVgprs: 0
; NumAgprs: 0
; TotalNumVgprs: 0
; ScratchSize: 0
; MemoryBound: 0
; FloatMode: 240
; IeeeMode: 1
; LDSByteSize: 0 bytes/workgroup (compile time only)
; SGPRBlocks: 0
; VGPRBlocks: 0
; NumSGPRsForWavesPerEU: 6
; NumVGPRsForWavesPerEU: 1
; AccumOffset: 4
; Occupancy: 8
; WaveLimiterHint : 0
; COMPUTE_PGM_RSRC2:SCRATCH_EN: 0
; COMPUTE_PGM_RSRC2:USER_SGPR: 2
; COMPUTE_PGM_RSRC2:TRAP_HANDLER: 0
; COMPUTE_PGM_RSRC2:TGID_X_EN: 1
; COMPUTE_PGM_RSRC2:TGID_Y_EN: 0
; COMPUTE_PGM_RSRC2:TGID_Z_EN: 0
; COMPUTE_PGM_RSRC2:TIDIG_COMP_CNT: 0
; COMPUTE_PGM_RSRC3_GFX90A:ACCUM_OFFSET: 0
; COMPUTE_PGM_RSRC3_GFX90A:TG_SPLIT: 0
	.section	.text._ZN7rocprim17ROCPRIM_400000_NS6detail17trampoline_kernelINS0_14default_configENS1_25partition_config_selectorILNS1_17partition_subalgoE9EllbEEZZNS1_14partition_implILS5_9ELb0ES3_jPKlN6thrust23THRUST_200600_302600_NS17counting_iteratorIlNSB_11use_defaultESD_SD_EEPNS0_10empty_typeENS0_5tupleIJPlSF_EEENSH_IJSI_SG_EEENS0_18inequality_wrapperIN6hipcub16HIPCUB_304000_NS8EqualityEEESI_JSF_EEE10hipError_tPvRmT3_T4_T5_T6_T7_T9_mT8_P12ihipStream_tbDpT10_ENKUlT_T0_E_clISt17integral_constantIbLb0EES19_EEDaS14_S15_EUlS14_E_NS1_11comp_targetILNS1_3genE9ELNS1_11target_archE1100ELNS1_3gpuE3ELNS1_3repE0EEENS1_30default_config_static_selectorELNS0_4arch9wavefront6targetE1EEEvT1_,"axG",@progbits,_ZN7rocprim17ROCPRIM_400000_NS6detail17trampoline_kernelINS0_14default_configENS1_25partition_config_selectorILNS1_17partition_subalgoE9EllbEEZZNS1_14partition_implILS5_9ELb0ES3_jPKlN6thrust23THRUST_200600_302600_NS17counting_iteratorIlNSB_11use_defaultESD_SD_EEPNS0_10empty_typeENS0_5tupleIJPlSF_EEENSH_IJSI_SG_EEENS0_18inequality_wrapperIN6hipcub16HIPCUB_304000_NS8EqualityEEESI_JSF_EEE10hipError_tPvRmT3_T4_T5_T6_T7_T9_mT8_P12ihipStream_tbDpT10_ENKUlT_T0_E_clISt17integral_constantIbLb0EES19_EEDaS14_S15_EUlS14_E_NS1_11comp_targetILNS1_3genE9ELNS1_11target_archE1100ELNS1_3gpuE3ELNS1_3repE0EEENS1_30default_config_static_selectorELNS0_4arch9wavefront6targetE1EEEvT1_,comdat
	.protected	_ZN7rocprim17ROCPRIM_400000_NS6detail17trampoline_kernelINS0_14default_configENS1_25partition_config_selectorILNS1_17partition_subalgoE9EllbEEZZNS1_14partition_implILS5_9ELb0ES3_jPKlN6thrust23THRUST_200600_302600_NS17counting_iteratorIlNSB_11use_defaultESD_SD_EEPNS0_10empty_typeENS0_5tupleIJPlSF_EEENSH_IJSI_SG_EEENS0_18inequality_wrapperIN6hipcub16HIPCUB_304000_NS8EqualityEEESI_JSF_EEE10hipError_tPvRmT3_T4_T5_T6_T7_T9_mT8_P12ihipStream_tbDpT10_ENKUlT_T0_E_clISt17integral_constantIbLb0EES19_EEDaS14_S15_EUlS14_E_NS1_11comp_targetILNS1_3genE9ELNS1_11target_archE1100ELNS1_3gpuE3ELNS1_3repE0EEENS1_30default_config_static_selectorELNS0_4arch9wavefront6targetE1EEEvT1_ ; -- Begin function _ZN7rocprim17ROCPRIM_400000_NS6detail17trampoline_kernelINS0_14default_configENS1_25partition_config_selectorILNS1_17partition_subalgoE9EllbEEZZNS1_14partition_implILS5_9ELb0ES3_jPKlN6thrust23THRUST_200600_302600_NS17counting_iteratorIlNSB_11use_defaultESD_SD_EEPNS0_10empty_typeENS0_5tupleIJPlSF_EEENSH_IJSI_SG_EEENS0_18inequality_wrapperIN6hipcub16HIPCUB_304000_NS8EqualityEEESI_JSF_EEE10hipError_tPvRmT3_T4_T5_T6_T7_T9_mT8_P12ihipStream_tbDpT10_ENKUlT_T0_E_clISt17integral_constantIbLb0EES19_EEDaS14_S15_EUlS14_E_NS1_11comp_targetILNS1_3genE9ELNS1_11target_archE1100ELNS1_3gpuE3ELNS1_3repE0EEENS1_30default_config_static_selectorELNS0_4arch9wavefront6targetE1EEEvT1_
	.globl	_ZN7rocprim17ROCPRIM_400000_NS6detail17trampoline_kernelINS0_14default_configENS1_25partition_config_selectorILNS1_17partition_subalgoE9EllbEEZZNS1_14partition_implILS5_9ELb0ES3_jPKlN6thrust23THRUST_200600_302600_NS17counting_iteratorIlNSB_11use_defaultESD_SD_EEPNS0_10empty_typeENS0_5tupleIJPlSF_EEENSH_IJSI_SG_EEENS0_18inequality_wrapperIN6hipcub16HIPCUB_304000_NS8EqualityEEESI_JSF_EEE10hipError_tPvRmT3_T4_T5_T6_T7_T9_mT8_P12ihipStream_tbDpT10_ENKUlT_T0_E_clISt17integral_constantIbLb0EES19_EEDaS14_S15_EUlS14_E_NS1_11comp_targetILNS1_3genE9ELNS1_11target_archE1100ELNS1_3gpuE3ELNS1_3repE0EEENS1_30default_config_static_selectorELNS0_4arch9wavefront6targetE1EEEvT1_
	.p2align	8
	.type	_ZN7rocprim17ROCPRIM_400000_NS6detail17trampoline_kernelINS0_14default_configENS1_25partition_config_selectorILNS1_17partition_subalgoE9EllbEEZZNS1_14partition_implILS5_9ELb0ES3_jPKlN6thrust23THRUST_200600_302600_NS17counting_iteratorIlNSB_11use_defaultESD_SD_EEPNS0_10empty_typeENS0_5tupleIJPlSF_EEENSH_IJSI_SG_EEENS0_18inequality_wrapperIN6hipcub16HIPCUB_304000_NS8EqualityEEESI_JSF_EEE10hipError_tPvRmT3_T4_T5_T6_T7_T9_mT8_P12ihipStream_tbDpT10_ENKUlT_T0_E_clISt17integral_constantIbLb0EES19_EEDaS14_S15_EUlS14_E_NS1_11comp_targetILNS1_3genE9ELNS1_11target_archE1100ELNS1_3gpuE3ELNS1_3repE0EEENS1_30default_config_static_selectorELNS0_4arch9wavefront6targetE1EEEvT1_,@function
_ZN7rocprim17ROCPRIM_400000_NS6detail17trampoline_kernelINS0_14default_configENS1_25partition_config_selectorILNS1_17partition_subalgoE9EllbEEZZNS1_14partition_implILS5_9ELb0ES3_jPKlN6thrust23THRUST_200600_302600_NS17counting_iteratorIlNSB_11use_defaultESD_SD_EEPNS0_10empty_typeENS0_5tupleIJPlSF_EEENSH_IJSI_SG_EEENS0_18inequality_wrapperIN6hipcub16HIPCUB_304000_NS8EqualityEEESI_JSF_EEE10hipError_tPvRmT3_T4_T5_T6_T7_T9_mT8_P12ihipStream_tbDpT10_ENKUlT_T0_E_clISt17integral_constantIbLb0EES19_EEDaS14_S15_EUlS14_E_NS1_11comp_targetILNS1_3genE9ELNS1_11target_archE1100ELNS1_3gpuE3ELNS1_3repE0EEENS1_30default_config_static_selectorELNS0_4arch9wavefront6targetE1EEEvT1_: ; @_ZN7rocprim17ROCPRIM_400000_NS6detail17trampoline_kernelINS0_14default_configENS1_25partition_config_selectorILNS1_17partition_subalgoE9EllbEEZZNS1_14partition_implILS5_9ELb0ES3_jPKlN6thrust23THRUST_200600_302600_NS17counting_iteratorIlNSB_11use_defaultESD_SD_EEPNS0_10empty_typeENS0_5tupleIJPlSF_EEENSH_IJSI_SG_EEENS0_18inequality_wrapperIN6hipcub16HIPCUB_304000_NS8EqualityEEESI_JSF_EEE10hipError_tPvRmT3_T4_T5_T6_T7_T9_mT8_P12ihipStream_tbDpT10_ENKUlT_T0_E_clISt17integral_constantIbLb0EES19_EEDaS14_S15_EUlS14_E_NS1_11comp_targetILNS1_3genE9ELNS1_11target_archE1100ELNS1_3gpuE3ELNS1_3repE0EEENS1_30default_config_static_selectorELNS0_4arch9wavefront6targetE1EEEvT1_
; %bb.0:
	.section	.rodata,"a",@progbits
	.p2align	6, 0x0
	.amdhsa_kernel _ZN7rocprim17ROCPRIM_400000_NS6detail17trampoline_kernelINS0_14default_configENS1_25partition_config_selectorILNS1_17partition_subalgoE9EllbEEZZNS1_14partition_implILS5_9ELb0ES3_jPKlN6thrust23THRUST_200600_302600_NS17counting_iteratorIlNSB_11use_defaultESD_SD_EEPNS0_10empty_typeENS0_5tupleIJPlSF_EEENSH_IJSI_SG_EEENS0_18inequality_wrapperIN6hipcub16HIPCUB_304000_NS8EqualityEEESI_JSF_EEE10hipError_tPvRmT3_T4_T5_T6_T7_T9_mT8_P12ihipStream_tbDpT10_ENKUlT_T0_E_clISt17integral_constantIbLb0EES19_EEDaS14_S15_EUlS14_E_NS1_11comp_targetILNS1_3genE9ELNS1_11target_archE1100ELNS1_3gpuE3ELNS1_3repE0EEENS1_30default_config_static_selectorELNS0_4arch9wavefront6targetE1EEEvT1_
		.amdhsa_group_segment_fixed_size 0
		.amdhsa_private_segment_fixed_size 0
		.amdhsa_kernarg_size 112
		.amdhsa_user_sgpr_count 2
		.amdhsa_user_sgpr_dispatch_ptr 0
		.amdhsa_user_sgpr_queue_ptr 0
		.amdhsa_user_sgpr_kernarg_segment_ptr 1
		.amdhsa_user_sgpr_dispatch_id 0
		.amdhsa_user_sgpr_kernarg_preload_length 0
		.amdhsa_user_sgpr_kernarg_preload_offset 0
		.amdhsa_user_sgpr_private_segment_size 0
		.amdhsa_uses_dynamic_stack 0
		.amdhsa_enable_private_segment 0
		.amdhsa_system_sgpr_workgroup_id_x 1
		.amdhsa_system_sgpr_workgroup_id_y 0
		.amdhsa_system_sgpr_workgroup_id_z 0
		.amdhsa_system_sgpr_workgroup_info 0
		.amdhsa_system_vgpr_workitem_id 0
		.amdhsa_next_free_vgpr 1
		.amdhsa_next_free_sgpr 0
		.amdhsa_accum_offset 4
		.amdhsa_reserve_vcc 0
		.amdhsa_float_round_mode_32 0
		.amdhsa_float_round_mode_16_64 0
		.amdhsa_float_denorm_mode_32 3
		.amdhsa_float_denorm_mode_16_64 3
		.amdhsa_dx10_clamp 1
		.amdhsa_ieee_mode 1
		.amdhsa_fp16_overflow 0
		.amdhsa_tg_split 0
		.amdhsa_exception_fp_ieee_invalid_op 0
		.amdhsa_exception_fp_denorm_src 0
		.amdhsa_exception_fp_ieee_div_zero 0
		.amdhsa_exception_fp_ieee_overflow 0
		.amdhsa_exception_fp_ieee_underflow 0
		.amdhsa_exception_fp_ieee_inexact 0
		.amdhsa_exception_int_div_zero 0
	.end_amdhsa_kernel
	.section	.text._ZN7rocprim17ROCPRIM_400000_NS6detail17trampoline_kernelINS0_14default_configENS1_25partition_config_selectorILNS1_17partition_subalgoE9EllbEEZZNS1_14partition_implILS5_9ELb0ES3_jPKlN6thrust23THRUST_200600_302600_NS17counting_iteratorIlNSB_11use_defaultESD_SD_EEPNS0_10empty_typeENS0_5tupleIJPlSF_EEENSH_IJSI_SG_EEENS0_18inequality_wrapperIN6hipcub16HIPCUB_304000_NS8EqualityEEESI_JSF_EEE10hipError_tPvRmT3_T4_T5_T6_T7_T9_mT8_P12ihipStream_tbDpT10_ENKUlT_T0_E_clISt17integral_constantIbLb0EES19_EEDaS14_S15_EUlS14_E_NS1_11comp_targetILNS1_3genE9ELNS1_11target_archE1100ELNS1_3gpuE3ELNS1_3repE0EEENS1_30default_config_static_selectorELNS0_4arch9wavefront6targetE1EEEvT1_,"axG",@progbits,_ZN7rocprim17ROCPRIM_400000_NS6detail17trampoline_kernelINS0_14default_configENS1_25partition_config_selectorILNS1_17partition_subalgoE9EllbEEZZNS1_14partition_implILS5_9ELb0ES3_jPKlN6thrust23THRUST_200600_302600_NS17counting_iteratorIlNSB_11use_defaultESD_SD_EEPNS0_10empty_typeENS0_5tupleIJPlSF_EEENSH_IJSI_SG_EEENS0_18inequality_wrapperIN6hipcub16HIPCUB_304000_NS8EqualityEEESI_JSF_EEE10hipError_tPvRmT3_T4_T5_T6_T7_T9_mT8_P12ihipStream_tbDpT10_ENKUlT_T0_E_clISt17integral_constantIbLb0EES19_EEDaS14_S15_EUlS14_E_NS1_11comp_targetILNS1_3genE9ELNS1_11target_archE1100ELNS1_3gpuE3ELNS1_3repE0EEENS1_30default_config_static_selectorELNS0_4arch9wavefront6targetE1EEEvT1_,comdat
.Lfunc_end50:
	.size	_ZN7rocprim17ROCPRIM_400000_NS6detail17trampoline_kernelINS0_14default_configENS1_25partition_config_selectorILNS1_17partition_subalgoE9EllbEEZZNS1_14partition_implILS5_9ELb0ES3_jPKlN6thrust23THRUST_200600_302600_NS17counting_iteratorIlNSB_11use_defaultESD_SD_EEPNS0_10empty_typeENS0_5tupleIJPlSF_EEENSH_IJSI_SG_EEENS0_18inequality_wrapperIN6hipcub16HIPCUB_304000_NS8EqualityEEESI_JSF_EEE10hipError_tPvRmT3_T4_T5_T6_T7_T9_mT8_P12ihipStream_tbDpT10_ENKUlT_T0_E_clISt17integral_constantIbLb0EES19_EEDaS14_S15_EUlS14_E_NS1_11comp_targetILNS1_3genE9ELNS1_11target_archE1100ELNS1_3gpuE3ELNS1_3repE0EEENS1_30default_config_static_selectorELNS0_4arch9wavefront6targetE1EEEvT1_, .Lfunc_end50-_ZN7rocprim17ROCPRIM_400000_NS6detail17trampoline_kernelINS0_14default_configENS1_25partition_config_selectorILNS1_17partition_subalgoE9EllbEEZZNS1_14partition_implILS5_9ELb0ES3_jPKlN6thrust23THRUST_200600_302600_NS17counting_iteratorIlNSB_11use_defaultESD_SD_EEPNS0_10empty_typeENS0_5tupleIJPlSF_EEENSH_IJSI_SG_EEENS0_18inequality_wrapperIN6hipcub16HIPCUB_304000_NS8EqualityEEESI_JSF_EEE10hipError_tPvRmT3_T4_T5_T6_T7_T9_mT8_P12ihipStream_tbDpT10_ENKUlT_T0_E_clISt17integral_constantIbLb0EES19_EEDaS14_S15_EUlS14_E_NS1_11comp_targetILNS1_3genE9ELNS1_11target_archE1100ELNS1_3gpuE3ELNS1_3repE0EEENS1_30default_config_static_selectorELNS0_4arch9wavefront6targetE1EEEvT1_
                                        ; -- End function
	.section	.AMDGPU.csdata,"",@progbits
; Kernel info:
; codeLenInByte = 0
; NumSgprs: 6
; NumVgprs: 0
; NumAgprs: 0
; TotalNumVgprs: 0
; ScratchSize: 0
; MemoryBound: 0
; FloatMode: 240
; IeeeMode: 1
; LDSByteSize: 0 bytes/workgroup (compile time only)
; SGPRBlocks: 0
; VGPRBlocks: 0
; NumSGPRsForWavesPerEU: 6
; NumVGPRsForWavesPerEU: 1
; AccumOffset: 4
; Occupancy: 8
; WaveLimiterHint : 0
; COMPUTE_PGM_RSRC2:SCRATCH_EN: 0
; COMPUTE_PGM_RSRC2:USER_SGPR: 2
; COMPUTE_PGM_RSRC2:TRAP_HANDLER: 0
; COMPUTE_PGM_RSRC2:TGID_X_EN: 1
; COMPUTE_PGM_RSRC2:TGID_Y_EN: 0
; COMPUTE_PGM_RSRC2:TGID_Z_EN: 0
; COMPUTE_PGM_RSRC2:TIDIG_COMP_CNT: 0
; COMPUTE_PGM_RSRC3_GFX90A:ACCUM_OFFSET: 0
; COMPUTE_PGM_RSRC3_GFX90A:TG_SPLIT: 0
	.section	.text._ZN7rocprim17ROCPRIM_400000_NS6detail17trampoline_kernelINS0_14default_configENS1_25partition_config_selectorILNS1_17partition_subalgoE9EllbEEZZNS1_14partition_implILS5_9ELb0ES3_jPKlN6thrust23THRUST_200600_302600_NS17counting_iteratorIlNSB_11use_defaultESD_SD_EEPNS0_10empty_typeENS0_5tupleIJPlSF_EEENSH_IJSI_SG_EEENS0_18inequality_wrapperIN6hipcub16HIPCUB_304000_NS8EqualityEEESI_JSF_EEE10hipError_tPvRmT3_T4_T5_T6_T7_T9_mT8_P12ihipStream_tbDpT10_ENKUlT_T0_E_clISt17integral_constantIbLb0EES19_EEDaS14_S15_EUlS14_E_NS1_11comp_targetILNS1_3genE8ELNS1_11target_archE1030ELNS1_3gpuE2ELNS1_3repE0EEENS1_30default_config_static_selectorELNS0_4arch9wavefront6targetE1EEEvT1_,"axG",@progbits,_ZN7rocprim17ROCPRIM_400000_NS6detail17trampoline_kernelINS0_14default_configENS1_25partition_config_selectorILNS1_17partition_subalgoE9EllbEEZZNS1_14partition_implILS5_9ELb0ES3_jPKlN6thrust23THRUST_200600_302600_NS17counting_iteratorIlNSB_11use_defaultESD_SD_EEPNS0_10empty_typeENS0_5tupleIJPlSF_EEENSH_IJSI_SG_EEENS0_18inequality_wrapperIN6hipcub16HIPCUB_304000_NS8EqualityEEESI_JSF_EEE10hipError_tPvRmT3_T4_T5_T6_T7_T9_mT8_P12ihipStream_tbDpT10_ENKUlT_T0_E_clISt17integral_constantIbLb0EES19_EEDaS14_S15_EUlS14_E_NS1_11comp_targetILNS1_3genE8ELNS1_11target_archE1030ELNS1_3gpuE2ELNS1_3repE0EEENS1_30default_config_static_selectorELNS0_4arch9wavefront6targetE1EEEvT1_,comdat
	.protected	_ZN7rocprim17ROCPRIM_400000_NS6detail17trampoline_kernelINS0_14default_configENS1_25partition_config_selectorILNS1_17partition_subalgoE9EllbEEZZNS1_14partition_implILS5_9ELb0ES3_jPKlN6thrust23THRUST_200600_302600_NS17counting_iteratorIlNSB_11use_defaultESD_SD_EEPNS0_10empty_typeENS0_5tupleIJPlSF_EEENSH_IJSI_SG_EEENS0_18inequality_wrapperIN6hipcub16HIPCUB_304000_NS8EqualityEEESI_JSF_EEE10hipError_tPvRmT3_T4_T5_T6_T7_T9_mT8_P12ihipStream_tbDpT10_ENKUlT_T0_E_clISt17integral_constantIbLb0EES19_EEDaS14_S15_EUlS14_E_NS1_11comp_targetILNS1_3genE8ELNS1_11target_archE1030ELNS1_3gpuE2ELNS1_3repE0EEENS1_30default_config_static_selectorELNS0_4arch9wavefront6targetE1EEEvT1_ ; -- Begin function _ZN7rocprim17ROCPRIM_400000_NS6detail17trampoline_kernelINS0_14default_configENS1_25partition_config_selectorILNS1_17partition_subalgoE9EllbEEZZNS1_14partition_implILS5_9ELb0ES3_jPKlN6thrust23THRUST_200600_302600_NS17counting_iteratorIlNSB_11use_defaultESD_SD_EEPNS0_10empty_typeENS0_5tupleIJPlSF_EEENSH_IJSI_SG_EEENS0_18inequality_wrapperIN6hipcub16HIPCUB_304000_NS8EqualityEEESI_JSF_EEE10hipError_tPvRmT3_T4_T5_T6_T7_T9_mT8_P12ihipStream_tbDpT10_ENKUlT_T0_E_clISt17integral_constantIbLb0EES19_EEDaS14_S15_EUlS14_E_NS1_11comp_targetILNS1_3genE8ELNS1_11target_archE1030ELNS1_3gpuE2ELNS1_3repE0EEENS1_30default_config_static_selectorELNS0_4arch9wavefront6targetE1EEEvT1_
	.globl	_ZN7rocprim17ROCPRIM_400000_NS6detail17trampoline_kernelINS0_14default_configENS1_25partition_config_selectorILNS1_17partition_subalgoE9EllbEEZZNS1_14partition_implILS5_9ELb0ES3_jPKlN6thrust23THRUST_200600_302600_NS17counting_iteratorIlNSB_11use_defaultESD_SD_EEPNS0_10empty_typeENS0_5tupleIJPlSF_EEENSH_IJSI_SG_EEENS0_18inequality_wrapperIN6hipcub16HIPCUB_304000_NS8EqualityEEESI_JSF_EEE10hipError_tPvRmT3_T4_T5_T6_T7_T9_mT8_P12ihipStream_tbDpT10_ENKUlT_T0_E_clISt17integral_constantIbLb0EES19_EEDaS14_S15_EUlS14_E_NS1_11comp_targetILNS1_3genE8ELNS1_11target_archE1030ELNS1_3gpuE2ELNS1_3repE0EEENS1_30default_config_static_selectorELNS0_4arch9wavefront6targetE1EEEvT1_
	.p2align	8
	.type	_ZN7rocprim17ROCPRIM_400000_NS6detail17trampoline_kernelINS0_14default_configENS1_25partition_config_selectorILNS1_17partition_subalgoE9EllbEEZZNS1_14partition_implILS5_9ELb0ES3_jPKlN6thrust23THRUST_200600_302600_NS17counting_iteratorIlNSB_11use_defaultESD_SD_EEPNS0_10empty_typeENS0_5tupleIJPlSF_EEENSH_IJSI_SG_EEENS0_18inequality_wrapperIN6hipcub16HIPCUB_304000_NS8EqualityEEESI_JSF_EEE10hipError_tPvRmT3_T4_T5_T6_T7_T9_mT8_P12ihipStream_tbDpT10_ENKUlT_T0_E_clISt17integral_constantIbLb0EES19_EEDaS14_S15_EUlS14_E_NS1_11comp_targetILNS1_3genE8ELNS1_11target_archE1030ELNS1_3gpuE2ELNS1_3repE0EEENS1_30default_config_static_selectorELNS0_4arch9wavefront6targetE1EEEvT1_,@function
_ZN7rocprim17ROCPRIM_400000_NS6detail17trampoline_kernelINS0_14default_configENS1_25partition_config_selectorILNS1_17partition_subalgoE9EllbEEZZNS1_14partition_implILS5_9ELb0ES3_jPKlN6thrust23THRUST_200600_302600_NS17counting_iteratorIlNSB_11use_defaultESD_SD_EEPNS0_10empty_typeENS0_5tupleIJPlSF_EEENSH_IJSI_SG_EEENS0_18inequality_wrapperIN6hipcub16HIPCUB_304000_NS8EqualityEEESI_JSF_EEE10hipError_tPvRmT3_T4_T5_T6_T7_T9_mT8_P12ihipStream_tbDpT10_ENKUlT_T0_E_clISt17integral_constantIbLb0EES19_EEDaS14_S15_EUlS14_E_NS1_11comp_targetILNS1_3genE8ELNS1_11target_archE1030ELNS1_3gpuE2ELNS1_3repE0EEENS1_30default_config_static_selectorELNS0_4arch9wavefront6targetE1EEEvT1_: ; @_ZN7rocprim17ROCPRIM_400000_NS6detail17trampoline_kernelINS0_14default_configENS1_25partition_config_selectorILNS1_17partition_subalgoE9EllbEEZZNS1_14partition_implILS5_9ELb0ES3_jPKlN6thrust23THRUST_200600_302600_NS17counting_iteratorIlNSB_11use_defaultESD_SD_EEPNS0_10empty_typeENS0_5tupleIJPlSF_EEENSH_IJSI_SG_EEENS0_18inequality_wrapperIN6hipcub16HIPCUB_304000_NS8EqualityEEESI_JSF_EEE10hipError_tPvRmT3_T4_T5_T6_T7_T9_mT8_P12ihipStream_tbDpT10_ENKUlT_T0_E_clISt17integral_constantIbLb0EES19_EEDaS14_S15_EUlS14_E_NS1_11comp_targetILNS1_3genE8ELNS1_11target_archE1030ELNS1_3gpuE2ELNS1_3repE0EEENS1_30default_config_static_selectorELNS0_4arch9wavefront6targetE1EEEvT1_
; %bb.0:
	.section	.rodata,"a",@progbits
	.p2align	6, 0x0
	.amdhsa_kernel _ZN7rocprim17ROCPRIM_400000_NS6detail17trampoline_kernelINS0_14default_configENS1_25partition_config_selectorILNS1_17partition_subalgoE9EllbEEZZNS1_14partition_implILS5_9ELb0ES3_jPKlN6thrust23THRUST_200600_302600_NS17counting_iteratorIlNSB_11use_defaultESD_SD_EEPNS0_10empty_typeENS0_5tupleIJPlSF_EEENSH_IJSI_SG_EEENS0_18inequality_wrapperIN6hipcub16HIPCUB_304000_NS8EqualityEEESI_JSF_EEE10hipError_tPvRmT3_T4_T5_T6_T7_T9_mT8_P12ihipStream_tbDpT10_ENKUlT_T0_E_clISt17integral_constantIbLb0EES19_EEDaS14_S15_EUlS14_E_NS1_11comp_targetILNS1_3genE8ELNS1_11target_archE1030ELNS1_3gpuE2ELNS1_3repE0EEENS1_30default_config_static_selectorELNS0_4arch9wavefront6targetE1EEEvT1_
		.amdhsa_group_segment_fixed_size 0
		.amdhsa_private_segment_fixed_size 0
		.amdhsa_kernarg_size 112
		.amdhsa_user_sgpr_count 2
		.amdhsa_user_sgpr_dispatch_ptr 0
		.amdhsa_user_sgpr_queue_ptr 0
		.amdhsa_user_sgpr_kernarg_segment_ptr 1
		.amdhsa_user_sgpr_dispatch_id 0
		.amdhsa_user_sgpr_kernarg_preload_length 0
		.amdhsa_user_sgpr_kernarg_preload_offset 0
		.amdhsa_user_sgpr_private_segment_size 0
		.amdhsa_uses_dynamic_stack 0
		.amdhsa_enable_private_segment 0
		.amdhsa_system_sgpr_workgroup_id_x 1
		.amdhsa_system_sgpr_workgroup_id_y 0
		.amdhsa_system_sgpr_workgroup_id_z 0
		.amdhsa_system_sgpr_workgroup_info 0
		.amdhsa_system_vgpr_workitem_id 0
		.amdhsa_next_free_vgpr 1
		.amdhsa_next_free_sgpr 0
		.amdhsa_accum_offset 4
		.amdhsa_reserve_vcc 0
		.amdhsa_float_round_mode_32 0
		.amdhsa_float_round_mode_16_64 0
		.amdhsa_float_denorm_mode_32 3
		.amdhsa_float_denorm_mode_16_64 3
		.amdhsa_dx10_clamp 1
		.amdhsa_ieee_mode 1
		.amdhsa_fp16_overflow 0
		.amdhsa_tg_split 0
		.amdhsa_exception_fp_ieee_invalid_op 0
		.amdhsa_exception_fp_denorm_src 0
		.amdhsa_exception_fp_ieee_div_zero 0
		.amdhsa_exception_fp_ieee_overflow 0
		.amdhsa_exception_fp_ieee_underflow 0
		.amdhsa_exception_fp_ieee_inexact 0
		.amdhsa_exception_int_div_zero 0
	.end_amdhsa_kernel
	.section	.text._ZN7rocprim17ROCPRIM_400000_NS6detail17trampoline_kernelINS0_14default_configENS1_25partition_config_selectorILNS1_17partition_subalgoE9EllbEEZZNS1_14partition_implILS5_9ELb0ES3_jPKlN6thrust23THRUST_200600_302600_NS17counting_iteratorIlNSB_11use_defaultESD_SD_EEPNS0_10empty_typeENS0_5tupleIJPlSF_EEENSH_IJSI_SG_EEENS0_18inequality_wrapperIN6hipcub16HIPCUB_304000_NS8EqualityEEESI_JSF_EEE10hipError_tPvRmT3_T4_T5_T6_T7_T9_mT8_P12ihipStream_tbDpT10_ENKUlT_T0_E_clISt17integral_constantIbLb0EES19_EEDaS14_S15_EUlS14_E_NS1_11comp_targetILNS1_3genE8ELNS1_11target_archE1030ELNS1_3gpuE2ELNS1_3repE0EEENS1_30default_config_static_selectorELNS0_4arch9wavefront6targetE1EEEvT1_,"axG",@progbits,_ZN7rocprim17ROCPRIM_400000_NS6detail17trampoline_kernelINS0_14default_configENS1_25partition_config_selectorILNS1_17partition_subalgoE9EllbEEZZNS1_14partition_implILS5_9ELb0ES3_jPKlN6thrust23THRUST_200600_302600_NS17counting_iteratorIlNSB_11use_defaultESD_SD_EEPNS0_10empty_typeENS0_5tupleIJPlSF_EEENSH_IJSI_SG_EEENS0_18inequality_wrapperIN6hipcub16HIPCUB_304000_NS8EqualityEEESI_JSF_EEE10hipError_tPvRmT3_T4_T5_T6_T7_T9_mT8_P12ihipStream_tbDpT10_ENKUlT_T0_E_clISt17integral_constantIbLb0EES19_EEDaS14_S15_EUlS14_E_NS1_11comp_targetILNS1_3genE8ELNS1_11target_archE1030ELNS1_3gpuE2ELNS1_3repE0EEENS1_30default_config_static_selectorELNS0_4arch9wavefront6targetE1EEEvT1_,comdat
.Lfunc_end51:
	.size	_ZN7rocprim17ROCPRIM_400000_NS6detail17trampoline_kernelINS0_14default_configENS1_25partition_config_selectorILNS1_17partition_subalgoE9EllbEEZZNS1_14partition_implILS5_9ELb0ES3_jPKlN6thrust23THRUST_200600_302600_NS17counting_iteratorIlNSB_11use_defaultESD_SD_EEPNS0_10empty_typeENS0_5tupleIJPlSF_EEENSH_IJSI_SG_EEENS0_18inequality_wrapperIN6hipcub16HIPCUB_304000_NS8EqualityEEESI_JSF_EEE10hipError_tPvRmT3_T4_T5_T6_T7_T9_mT8_P12ihipStream_tbDpT10_ENKUlT_T0_E_clISt17integral_constantIbLb0EES19_EEDaS14_S15_EUlS14_E_NS1_11comp_targetILNS1_3genE8ELNS1_11target_archE1030ELNS1_3gpuE2ELNS1_3repE0EEENS1_30default_config_static_selectorELNS0_4arch9wavefront6targetE1EEEvT1_, .Lfunc_end51-_ZN7rocprim17ROCPRIM_400000_NS6detail17trampoline_kernelINS0_14default_configENS1_25partition_config_selectorILNS1_17partition_subalgoE9EllbEEZZNS1_14partition_implILS5_9ELb0ES3_jPKlN6thrust23THRUST_200600_302600_NS17counting_iteratorIlNSB_11use_defaultESD_SD_EEPNS0_10empty_typeENS0_5tupleIJPlSF_EEENSH_IJSI_SG_EEENS0_18inequality_wrapperIN6hipcub16HIPCUB_304000_NS8EqualityEEESI_JSF_EEE10hipError_tPvRmT3_T4_T5_T6_T7_T9_mT8_P12ihipStream_tbDpT10_ENKUlT_T0_E_clISt17integral_constantIbLb0EES19_EEDaS14_S15_EUlS14_E_NS1_11comp_targetILNS1_3genE8ELNS1_11target_archE1030ELNS1_3gpuE2ELNS1_3repE0EEENS1_30default_config_static_selectorELNS0_4arch9wavefront6targetE1EEEvT1_
                                        ; -- End function
	.section	.AMDGPU.csdata,"",@progbits
; Kernel info:
; codeLenInByte = 0
; NumSgprs: 6
; NumVgprs: 0
; NumAgprs: 0
; TotalNumVgprs: 0
; ScratchSize: 0
; MemoryBound: 0
; FloatMode: 240
; IeeeMode: 1
; LDSByteSize: 0 bytes/workgroup (compile time only)
; SGPRBlocks: 0
; VGPRBlocks: 0
; NumSGPRsForWavesPerEU: 6
; NumVGPRsForWavesPerEU: 1
; AccumOffset: 4
; Occupancy: 8
; WaveLimiterHint : 0
; COMPUTE_PGM_RSRC2:SCRATCH_EN: 0
; COMPUTE_PGM_RSRC2:USER_SGPR: 2
; COMPUTE_PGM_RSRC2:TRAP_HANDLER: 0
; COMPUTE_PGM_RSRC2:TGID_X_EN: 1
; COMPUTE_PGM_RSRC2:TGID_Y_EN: 0
; COMPUTE_PGM_RSRC2:TGID_Z_EN: 0
; COMPUTE_PGM_RSRC2:TIDIG_COMP_CNT: 0
; COMPUTE_PGM_RSRC3_GFX90A:ACCUM_OFFSET: 0
; COMPUTE_PGM_RSRC3_GFX90A:TG_SPLIT: 0
	.section	.text._ZN7rocprim17ROCPRIM_400000_NS6detail17trampoline_kernelINS0_14default_configENS1_25partition_config_selectorILNS1_17partition_subalgoE9EllbEEZZNS1_14partition_implILS5_9ELb0ES3_jPKlN6thrust23THRUST_200600_302600_NS17counting_iteratorIlNSB_11use_defaultESD_SD_EEPNS0_10empty_typeENS0_5tupleIJPlSF_EEENSH_IJSI_SG_EEENS0_18inequality_wrapperIN6hipcub16HIPCUB_304000_NS8EqualityEEESI_JSF_EEE10hipError_tPvRmT3_T4_T5_T6_T7_T9_mT8_P12ihipStream_tbDpT10_ENKUlT_T0_E_clISt17integral_constantIbLb1EES19_EEDaS14_S15_EUlS14_E_NS1_11comp_targetILNS1_3genE0ELNS1_11target_archE4294967295ELNS1_3gpuE0ELNS1_3repE0EEENS1_30default_config_static_selectorELNS0_4arch9wavefront6targetE1EEEvT1_,"axG",@progbits,_ZN7rocprim17ROCPRIM_400000_NS6detail17trampoline_kernelINS0_14default_configENS1_25partition_config_selectorILNS1_17partition_subalgoE9EllbEEZZNS1_14partition_implILS5_9ELb0ES3_jPKlN6thrust23THRUST_200600_302600_NS17counting_iteratorIlNSB_11use_defaultESD_SD_EEPNS0_10empty_typeENS0_5tupleIJPlSF_EEENSH_IJSI_SG_EEENS0_18inequality_wrapperIN6hipcub16HIPCUB_304000_NS8EqualityEEESI_JSF_EEE10hipError_tPvRmT3_T4_T5_T6_T7_T9_mT8_P12ihipStream_tbDpT10_ENKUlT_T0_E_clISt17integral_constantIbLb1EES19_EEDaS14_S15_EUlS14_E_NS1_11comp_targetILNS1_3genE0ELNS1_11target_archE4294967295ELNS1_3gpuE0ELNS1_3repE0EEENS1_30default_config_static_selectorELNS0_4arch9wavefront6targetE1EEEvT1_,comdat
	.protected	_ZN7rocprim17ROCPRIM_400000_NS6detail17trampoline_kernelINS0_14default_configENS1_25partition_config_selectorILNS1_17partition_subalgoE9EllbEEZZNS1_14partition_implILS5_9ELb0ES3_jPKlN6thrust23THRUST_200600_302600_NS17counting_iteratorIlNSB_11use_defaultESD_SD_EEPNS0_10empty_typeENS0_5tupleIJPlSF_EEENSH_IJSI_SG_EEENS0_18inequality_wrapperIN6hipcub16HIPCUB_304000_NS8EqualityEEESI_JSF_EEE10hipError_tPvRmT3_T4_T5_T6_T7_T9_mT8_P12ihipStream_tbDpT10_ENKUlT_T0_E_clISt17integral_constantIbLb1EES19_EEDaS14_S15_EUlS14_E_NS1_11comp_targetILNS1_3genE0ELNS1_11target_archE4294967295ELNS1_3gpuE0ELNS1_3repE0EEENS1_30default_config_static_selectorELNS0_4arch9wavefront6targetE1EEEvT1_ ; -- Begin function _ZN7rocprim17ROCPRIM_400000_NS6detail17trampoline_kernelINS0_14default_configENS1_25partition_config_selectorILNS1_17partition_subalgoE9EllbEEZZNS1_14partition_implILS5_9ELb0ES3_jPKlN6thrust23THRUST_200600_302600_NS17counting_iteratorIlNSB_11use_defaultESD_SD_EEPNS0_10empty_typeENS0_5tupleIJPlSF_EEENSH_IJSI_SG_EEENS0_18inequality_wrapperIN6hipcub16HIPCUB_304000_NS8EqualityEEESI_JSF_EEE10hipError_tPvRmT3_T4_T5_T6_T7_T9_mT8_P12ihipStream_tbDpT10_ENKUlT_T0_E_clISt17integral_constantIbLb1EES19_EEDaS14_S15_EUlS14_E_NS1_11comp_targetILNS1_3genE0ELNS1_11target_archE4294967295ELNS1_3gpuE0ELNS1_3repE0EEENS1_30default_config_static_selectorELNS0_4arch9wavefront6targetE1EEEvT1_
	.globl	_ZN7rocprim17ROCPRIM_400000_NS6detail17trampoline_kernelINS0_14default_configENS1_25partition_config_selectorILNS1_17partition_subalgoE9EllbEEZZNS1_14partition_implILS5_9ELb0ES3_jPKlN6thrust23THRUST_200600_302600_NS17counting_iteratorIlNSB_11use_defaultESD_SD_EEPNS0_10empty_typeENS0_5tupleIJPlSF_EEENSH_IJSI_SG_EEENS0_18inequality_wrapperIN6hipcub16HIPCUB_304000_NS8EqualityEEESI_JSF_EEE10hipError_tPvRmT3_T4_T5_T6_T7_T9_mT8_P12ihipStream_tbDpT10_ENKUlT_T0_E_clISt17integral_constantIbLb1EES19_EEDaS14_S15_EUlS14_E_NS1_11comp_targetILNS1_3genE0ELNS1_11target_archE4294967295ELNS1_3gpuE0ELNS1_3repE0EEENS1_30default_config_static_selectorELNS0_4arch9wavefront6targetE1EEEvT1_
	.p2align	8
	.type	_ZN7rocprim17ROCPRIM_400000_NS6detail17trampoline_kernelINS0_14default_configENS1_25partition_config_selectorILNS1_17partition_subalgoE9EllbEEZZNS1_14partition_implILS5_9ELb0ES3_jPKlN6thrust23THRUST_200600_302600_NS17counting_iteratorIlNSB_11use_defaultESD_SD_EEPNS0_10empty_typeENS0_5tupleIJPlSF_EEENSH_IJSI_SG_EEENS0_18inequality_wrapperIN6hipcub16HIPCUB_304000_NS8EqualityEEESI_JSF_EEE10hipError_tPvRmT3_T4_T5_T6_T7_T9_mT8_P12ihipStream_tbDpT10_ENKUlT_T0_E_clISt17integral_constantIbLb1EES19_EEDaS14_S15_EUlS14_E_NS1_11comp_targetILNS1_3genE0ELNS1_11target_archE4294967295ELNS1_3gpuE0ELNS1_3repE0EEENS1_30default_config_static_selectorELNS0_4arch9wavefront6targetE1EEEvT1_,@function
_ZN7rocprim17ROCPRIM_400000_NS6detail17trampoline_kernelINS0_14default_configENS1_25partition_config_selectorILNS1_17partition_subalgoE9EllbEEZZNS1_14partition_implILS5_9ELb0ES3_jPKlN6thrust23THRUST_200600_302600_NS17counting_iteratorIlNSB_11use_defaultESD_SD_EEPNS0_10empty_typeENS0_5tupleIJPlSF_EEENSH_IJSI_SG_EEENS0_18inequality_wrapperIN6hipcub16HIPCUB_304000_NS8EqualityEEESI_JSF_EEE10hipError_tPvRmT3_T4_T5_T6_T7_T9_mT8_P12ihipStream_tbDpT10_ENKUlT_T0_E_clISt17integral_constantIbLb1EES19_EEDaS14_S15_EUlS14_E_NS1_11comp_targetILNS1_3genE0ELNS1_11target_archE4294967295ELNS1_3gpuE0ELNS1_3repE0EEENS1_30default_config_static_selectorELNS0_4arch9wavefront6targetE1EEEvT1_: ; @_ZN7rocprim17ROCPRIM_400000_NS6detail17trampoline_kernelINS0_14default_configENS1_25partition_config_selectorILNS1_17partition_subalgoE9EllbEEZZNS1_14partition_implILS5_9ELb0ES3_jPKlN6thrust23THRUST_200600_302600_NS17counting_iteratorIlNSB_11use_defaultESD_SD_EEPNS0_10empty_typeENS0_5tupleIJPlSF_EEENSH_IJSI_SG_EEENS0_18inequality_wrapperIN6hipcub16HIPCUB_304000_NS8EqualityEEESI_JSF_EEE10hipError_tPvRmT3_T4_T5_T6_T7_T9_mT8_P12ihipStream_tbDpT10_ENKUlT_T0_E_clISt17integral_constantIbLb1EES19_EEDaS14_S15_EUlS14_E_NS1_11comp_targetILNS1_3genE0ELNS1_11target_archE4294967295ELNS1_3gpuE0ELNS1_3repE0EEENS1_30default_config_static_selectorELNS0_4arch9wavefront6targetE1EEEvT1_
; %bb.0:
	.section	.rodata,"a",@progbits
	.p2align	6, 0x0
	.amdhsa_kernel _ZN7rocprim17ROCPRIM_400000_NS6detail17trampoline_kernelINS0_14default_configENS1_25partition_config_selectorILNS1_17partition_subalgoE9EllbEEZZNS1_14partition_implILS5_9ELb0ES3_jPKlN6thrust23THRUST_200600_302600_NS17counting_iteratorIlNSB_11use_defaultESD_SD_EEPNS0_10empty_typeENS0_5tupleIJPlSF_EEENSH_IJSI_SG_EEENS0_18inequality_wrapperIN6hipcub16HIPCUB_304000_NS8EqualityEEESI_JSF_EEE10hipError_tPvRmT3_T4_T5_T6_T7_T9_mT8_P12ihipStream_tbDpT10_ENKUlT_T0_E_clISt17integral_constantIbLb1EES19_EEDaS14_S15_EUlS14_E_NS1_11comp_targetILNS1_3genE0ELNS1_11target_archE4294967295ELNS1_3gpuE0ELNS1_3repE0EEENS1_30default_config_static_selectorELNS0_4arch9wavefront6targetE1EEEvT1_
		.amdhsa_group_segment_fixed_size 0
		.amdhsa_private_segment_fixed_size 0
		.amdhsa_kernarg_size 128
		.amdhsa_user_sgpr_count 2
		.amdhsa_user_sgpr_dispatch_ptr 0
		.amdhsa_user_sgpr_queue_ptr 0
		.amdhsa_user_sgpr_kernarg_segment_ptr 1
		.amdhsa_user_sgpr_dispatch_id 0
		.amdhsa_user_sgpr_kernarg_preload_length 0
		.amdhsa_user_sgpr_kernarg_preload_offset 0
		.amdhsa_user_sgpr_private_segment_size 0
		.amdhsa_uses_dynamic_stack 0
		.amdhsa_enable_private_segment 0
		.amdhsa_system_sgpr_workgroup_id_x 1
		.amdhsa_system_sgpr_workgroup_id_y 0
		.amdhsa_system_sgpr_workgroup_id_z 0
		.amdhsa_system_sgpr_workgroup_info 0
		.amdhsa_system_vgpr_workitem_id 0
		.amdhsa_next_free_vgpr 1
		.amdhsa_next_free_sgpr 0
		.amdhsa_accum_offset 4
		.amdhsa_reserve_vcc 0
		.amdhsa_float_round_mode_32 0
		.amdhsa_float_round_mode_16_64 0
		.amdhsa_float_denorm_mode_32 3
		.amdhsa_float_denorm_mode_16_64 3
		.amdhsa_dx10_clamp 1
		.amdhsa_ieee_mode 1
		.amdhsa_fp16_overflow 0
		.amdhsa_tg_split 0
		.amdhsa_exception_fp_ieee_invalid_op 0
		.amdhsa_exception_fp_denorm_src 0
		.amdhsa_exception_fp_ieee_div_zero 0
		.amdhsa_exception_fp_ieee_overflow 0
		.amdhsa_exception_fp_ieee_underflow 0
		.amdhsa_exception_fp_ieee_inexact 0
		.amdhsa_exception_int_div_zero 0
	.end_amdhsa_kernel
	.section	.text._ZN7rocprim17ROCPRIM_400000_NS6detail17trampoline_kernelINS0_14default_configENS1_25partition_config_selectorILNS1_17partition_subalgoE9EllbEEZZNS1_14partition_implILS5_9ELb0ES3_jPKlN6thrust23THRUST_200600_302600_NS17counting_iteratorIlNSB_11use_defaultESD_SD_EEPNS0_10empty_typeENS0_5tupleIJPlSF_EEENSH_IJSI_SG_EEENS0_18inequality_wrapperIN6hipcub16HIPCUB_304000_NS8EqualityEEESI_JSF_EEE10hipError_tPvRmT3_T4_T5_T6_T7_T9_mT8_P12ihipStream_tbDpT10_ENKUlT_T0_E_clISt17integral_constantIbLb1EES19_EEDaS14_S15_EUlS14_E_NS1_11comp_targetILNS1_3genE0ELNS1_11target_archE4294967295ELNS1_3gpuE0ELNS1_3repE0EEENS1_30default_config_static_selectorELNS0_4arch9wavefront6targetE1EEEvT1_,"axG",@progbits,_ZN7rocprim17ROCPRIM_400000_NS6detail17trampoline_kernelINS0_14default_configENS1_25partition_config_selectorILNS1_17partition_subalgoE9EllbEEZZNS1_14partition_implILS5_9ELb0ES3_jPKlN6thrust23THRUST_200600_302600_NS17counting_iteratorIlNSB_11use_defaultESD_SD_EEPNS0_10empty_typeENS0_5tupleIJPlSF_EEENSH_IJSI_SG_EEENS0_18inequality_wrapperIN6hipcub16HIPCUB_304000_NS8EqualityEEESI_JSF_EEE10hipError_tPvRmT3_T4_T5_T6_T7_T9_mT8_P12ihipStream_tbDpT10_ENKUlT_T0_E_clISt17integral_constantIbLb1EES19_EEDaS14_S15_EUlS14_E_NS1_11comp_targetILNS1_3genE0ELNS1_11target_archE4294967295ELNS1_3gpuE0ELNS1_3repE0EEENS1_30default_config_static_selectorELNS0_4arch9wavefront6targetE1EEEvT1_,comdat
.Lfunc_end52:
	.size	_ZN7rocprim17ROCPRIM_400000_NS6detail17trampoline_kernelINS0_14default_configENS1_25partition_config_selectorILNS1_17partition_subalgoE9EllbEEZZNS1_14partition_implILS5_9ELb0ES3_jPKlN6thrust23THRUST_200600_302600_NS17counting_iteratorIlNSB_11use_defaultESD_SD_EEPNS0_10empty_typeENS0_5tupleIJPlSF_EEENSH_IJSI_SG_EEENS0_18inequality_wrapperIN6hipcub16HIPCUB_304000_NS8EqualityEEESI_JSF_EEE10hipError_tPvRmT3_T4_T5_T6_T7_T9_mT8_P12ihipStream_tbDpT10_ENKUlT_T0_E_clISt17integral_constantIbLb1EES19_EEDaS14_S15_EUlS14_E_NS1_11comp_targetILNS1_3genE0ELNS1_11target_archE4294967295ELNS1_3gpuE0ELNS1_3repE0EEENS1_30default_config_static_selectorELNS0_4arch9wavefront6targetE1EEEvT1_, .Lfunc_end52-_ZN7rocprim17ROCPRIM_400000_NS6detail17trampoline_kernelINS0_14default_configENS1_25partition_config_selectorILNS1_17partition_subalgoE9EllbEEZZNS1_14partition_implILS5_9ELb0ES3_jPKlN6thrust23THRUST_200600_302600_NS17counting_iteratorIlNSB_11use_defaultESD_SD_EEPNS0_10empty_typeENS0_5tupleIJPlSF_EEENSH_IJSI_SG_EEENS0_18inequality_wrapperIN6hipcub16HIPCUB_304000_NS8EqualityEEESI_JSF_EEE10hipError_tPvRmT3_T4_T5_T6_T7_T9_mT8_P12ihipStream_tbDpT10_ENKUlT_T0_E_clISt17integral_constantIbLb1EES19_EEDaS14_S15_EUlS14_E_NS1_11comp_targetILNS1_3genE0ELNS1_11target_archE4294967295ELNS1_3gpuE0ELNS1_3repE0EEENS1_30default_config_static_selectorELNS0_4arch9wavefront6targetE1EEEvT1_
                                        ; -- End function
	.section	.AMDGPU.csdata,"",@progbits
; Kernel info:
; codeLenInByte = 0
; NumSgprs: 6
; NumVgprs: 0
; NumAgprs: 0
; TotalNumVgprs: 0
; ScratchSize: 0
; MemoryBound: 0
; FloatMode: 240
; IeeeMode: 1
; LDSByteSize: 0 bytes/workgroup (compile time only)
; SGPRBlocks: 0
; VGPRBlocks: 0
; NumSGPRsForWavesPerEU: 6
; NumVGPRsForWavesPerEU: 1
; AccumOffset: 4
; Occupancy: 8
; WaveLimiterHint : 0
; COMPUTE_PGM_RSRC2:SCRATCH_EN: 0
; COMPUTE_PGM_RSRC2:USER_SGPR: 2
; COMPUTE_PGM_RSRC2:TRAP_HANDLER: 0
; COMPUTE_PGM_RSRC2:TGID_X_EN: 1
; COMPUTE_PGM_RSRC2:TGID_Y_EN: 0
; COMPUTE_PGM_RSRC2:TGID_Z_EN: 0
; COMPUTE_PGM_RSRC2:TIDIG_COMP_CNT: 0
; COMPUTE_PGM_RSRC3_GFX90A:ACCUM_OFFSET: 0
; COMPUTE_PGM_RSRC3_GFX90A:TG_SPLIT: 0
	.section	.text._ZN7rocprim17ROCPRIM_400000_NS6detail17trampoline_kernelINS0_14default_configENS1_25partition_config_selectorILNS1_17partition_subalgoE9EllbEEZZNS1_14partition_implILS5_9ELb0ES3_jPKlN6thrust23THRUST_200600_302600_NS17counting_iteratorIlNSB_11use_defaultESD_SD_EEPNS0_10empty_typeENS0_5tupleIJPlSF_EEENSH_IJSI_SG_EEENS0_18inequality_wrapperIN6hipcub16HIPCUB_304000_NS8EqualityEEESI_JSF_EEE10hipError_tPvRmT3_T4_T5_T6_T7_T9_mT8_P12ihipStream_tbDpT10_ENKUlT_T0_E_clISt17integral_constantIbLb1EES19_EEDaS14_S15_EUlS14_E_NS1_11comp_targetILNS1_3genE5ELNS1_11target_archE942ELNS1_3gpuE9ELNS1_3repE0EEENS1_30default_config_static_selectorELNS0_4arch9wavefront6targetE1EEEvT1_,"axG",@progbits,_ZN7rocprim17ROCPRIM_400000_NS6detail17trampoline_kernelINS0_14default_configENS1_25partition_config_selectorILNS1_17partition_subalgoE9EllbEEZZNS1_14partition_implILS5_9ELb0ES3_jPKlN6thrust23THRUST_200600_302600_NS17counting_iteratorIlNSB_11use_defaultESD_SD_EEPNS0_10empty_typeENS0_5tupleIJPlSF_EEENSH_IJSI_SG_EEENS0_18inequality_wrapperIN6hipcub16HIPCUB_304000_NS8EqualityEEESI_JSF_EEE10hipError_tPvRmT3_T4_T5_T6_T7_T9_mT8_P12ihipStream_tbDpT10_ENKUlT_T0_E_clISt17integral_constantIbLb1EES19_EEDaS14_S15_EUlS14_E_NS1_11comp_targetILNS1_3genE5ELNS1_11target_archE942ELNS1_3gpuE9ELNS1_3repE0EEENS1_30default_config_static_selectorELNS0_4arch9wavefront6targetE1EEEvT1_,comdat
	.protected	_ZN7rocprim17ROCPRIM_400000_NS6detail17trampoline_kernelINS0_14default_configENS1_25partition_config_selectorILNS1_17partition_subalgoE9EllbEEZZNS1_14partition_implILS5_9ELb0ES3_jPKlN6thrust23THRUST_200600_302600_NS17counting_iteratorIlNSB_11use_defaultESD_SD_EEPNS0_10empty_typeENS0_5tupleIJPlSF_EEENSH_IJSI_SG_EEENS0_18inequality_wrapperIN6hipcub16HIPCUB_304000_NS8EqualityEEESI_JSF_EEE10hipError_tPvRmT3_T4_T5_T6_T7_T9_mT8_P12ihipStream_tbDpT10_ENKUlT_T0_E_clISt17integral_constantIbLb1EES19_EEDaS14_S15_EUlS14_E_NS1_11comp_targetILNS1_3genE5ELNS1_11target_archE942ELNS1_3gpuE9ELNS1_3repE0EEENS1_30default_config_static_selectorELNS0_4arch9wavefront6targetE1EEEvT1_ ; -- Begin function _ZN7rocprim17ROCPRIM_400000_NS6detail17trampoline_kernelINS0_14default_configENS1_25partition_config_selectorILNS1_17partition_subalgoE9EllbEEZZNS1_14partition_implILS5_9ELb0ES3_jPKlN6thrust23THRUST_200600_302600_NS17counting_iteratorIlNSB_11use_defaultESD_SD_EEPNS0_10empty_typeENS0_5tupleIJPlSF_EEENSH_IJSI_SG_EEENS0_18inequality_wrapperIN6hipcub16HIPCUB_304000_NS8EqualityEEESI_JSF_EEE10hipError_tPvRmT3_T4_T5_T6_T7_T9_mT8_P12ihipStream_tbDpT10_ENKUlT_T0_E_clISt17integral_constantIbLb1EES19_EEDaS14_S15_EUlS14_E_NS1_11comp_targetILNS1_3genE5ELNS1_11target_archE942ELNS1_3gpuE9ELNS1_3repE0EEENS1_30default_config_static_selectorELNS0_4arch9wavefront6targetE1EEEvT1_
	.globl	_ZN7rocprim17ROCPRIM_400000_NS6detail17trampoline_kernelINS0_14default_configENS1_25partition_config_selectorILNS1_17partition_subalgoE9EllbEEZZNS1_14partition_implILS5_9ELb0ES3_jPKlN6thrust23THRUST_200600_302600_NS17counting_iteratorIlNSB_11use_defaultESD_SD_EEPNS0_10empty_typeENS0_5tupleIJPlSF_EEENSH_IJSI_SG_EEENS0_18inequality_wrapperIN6hipcub16HIPCUB_304000_NS8EqualityEEESI_JSF_EEE10hipError_tPvRmT3_T4_T5_T6_T7_T9_mT8_P12ihipStream_tbDpT10_ENKUlT_T0_E_clISt17integral_constantIbLb1EES19_EEDaS14_S15_EUlS14_E_NS1_11comp_targetILNS1_3genE5ELNS1_11target_archE942ELNS1_3gpuE9ELNS1_3repE0EEENS1_30default_config_static_selectorELNS0_4arch9wavefront6targetE1EEEvT1_
	.p2align	8
	.type	_ZN7rocprim17ROCPRIM_400000_NS6detail17trampoline_kernelINS0_14default_configENS1_25partition_config_selectorILNS1_17partition_subalgoE9EllbEEZZNS1_14partition_implILS5_9ELb0ES3_jPKlN6thrust23THRUST_200600_302600_NS17counting_iteratorIlNSB_11use_defaultESD_SD_EEPNS0_10empty_typeENS0_5tupleIJPlSF_EEENSH_IJSI_SG_EEENS0_18inequality_wrapperIN6hipcub16HIPCUB_304000_NS8EqualityEEESI_JSF_EEE10hipError_tPvRmT3_T4_T5_T6_T7_T9_mT8_P12ihipStream_tbDpT10_ENKUlT_T0_E_clISt17integral_constantIbLb1EES19_EEDaS14_S15_EUlS14_E_NS1_11comp_targetILNS1_3genE5ELNS1_11target_archE942ELNS1_3gpuE9ELNS1_3repE0EEENS1_30default_config_static_selectorELNS0_4arch9wavefront6targetE1EEEvT1_,@function
_ZN7rocprim17ROCPRIM_400000_NS6detail17trampoline_kernelINS0_14default_configENS1_25partition_config_selectorILNS1_17partition_subalgoE9EllbEEZZNS1_14partition_implILS5_9ELb0ES3_jPKlN6thrust23THRUST_200600_302600_NS17counting_iteratorIlNSB_11use_defaultESD_SD_EEPNS0_10empty_typeENS0_5tupleIJPlSF_EEENSH_IJSI_SG_EEENS0_18inequality_wrapperIN6hipcub16HIPCUB_304000_NS8EqualityEEESI_JSF_EEE10hipError_tPvRmT3_T4_T5_T6_T7_T9_mT8_P12ihipStream_tbDpT10_ENKUlT_T0_E_clISt17integral_constantIbLb1EES19_EEDaS14_S15_EUlS14_E_NS1_11comp_targetILNS1_3genE5ELNS1_11target_archE942ELNS1_3gpuE9ELNS1_3repE0EEENS1_30default_config_static_selectorELNS0_4arch9wavefront6targetE1EEEvT1_: ; @_ZN7rocprim17ROCPRIM_400000_NS6detail17trampoline_kernelINS0_14default_configENS1_25partition_config_selectorILNS1_17partition_subalgoE9EllbEEZZNS1_14partition_implILS5_9ELb0ES3_jPKlN6thrust23THRUST_200600_302600_NS17counting_iteratorIlNSB_11use_defaultESD_SD_EEPNS0_10empty_typeENS0_5tupleIJPlSF_EEENSH_IJSI_SG_EEENS0_18inequality_wrapperIN6hipcub16HIPCUB_304000_NS8EqualityEEESI_JSF_EEE10hipError_tPvRmT3_T4_T5_T6_T7_T9_mT8_P12ihipStream_tbDpT10_ENKUlT_T0_E_clISt17integral_constantIbLb1EES19_EEDaS14_S15_EUlS14_E_NS1_11comp_targetILNS1_3genE5ELNS1_11target_archE942ELNS1_3gpuE9ELNS1_3repE0EEENS1_30default_config_static_selectorELNS0_4arch9wavefront6targetE1EEEvT1_
; %bb.0:
	s_load_dwordx4 s[4:7], s[0:1], 0x8
	s_load_dwordx2 s[8:9], s[0:1], 0x18
	s_load_dwordx4 s[20:23], s[0:1], 0x40
	s_load_dwordx2 s[10:11], s[0:1], 0x50
	s_load_dwordx2 s[34:35], s[0:1], 0x60
	v_cmp_ne_u32_e64 s[2:3], 0, v0
	v_cmp_eq_u32_e64 s[18:19], 0, v0
	s_and_saveexec_b64 s[12:13], s[18:19]
	s_cbranch_execz .LBB53_4
; %bb.1:
	s_mov_b64 s[16:17], exec
	v_mbcnt_lo_u32_b32 v1, s16, 0
	v_mbcnt_hi_u32_b32 v1, s17, v1
	v_cmp_eq_u32_e32 vcc, 0, v1
                                        ; implicit-def: $vgpr2
	s_and_saveexec_b64 s[14:15], vcc
	s_cbranch_execz .LBB53_3
; %bb.2:
	s_load_dwordx2 s[24:25], s[0:1], 0x70
	s_bcnt1_i32_b64 s16, s[16:17]
	v_mov_b32_e32 v2, 0
	v_mov_b32_e32 v3, s16
	s_waitcnt lgkmcnt(0)
	global_atomic_add v2, v2, v3, s[24:25] sc0
.LBB53_3:
	s_or_b64 exec, exec, s[14:15]
	s_waitcnt vmcnt(0)
	v_readfirstlane_b32 s14, v2
	v_mov_b32_e32 v2, 0
	s_nop 0
	v_add_u32_e32 v1, s14, v1
	ds_write_b32 v2, v1
.LBB53_4:
	s_or_b64 exec, exec, s[12:13]
	v_mov_b32_e32 v1, 0
	s_load_dwordx4 s[24:27], s[0:1], 0x28
	s_load_dword s14, s[0:1], 0x68
	s_waitcnt lgkmcnt(0)
	s_barrier
	ds_read_b32 v6, v1
	s_waitcnt lgkmcnt(0)
	s_barrier
	global_load_dwordx2 v[2:3], v1, s[22:23]
	s_lshl_b64 s[0:1], s[6:7], 3
	s_mul_i32 s15, s14, 0xe00
	s_add_u32 s4, s4, s0
	s_addc_u32 s5, s5, s1
	s_add_i32 s0, s15, s6
	s_add_i32 s14, s14, -1
	s_sub_i32 s38, s10, s0
	s_add_u32 s0, s6, s15
	s_addc_u32 s1, s7, 0
	v_readfirstlane_b32 s33, v6
	v_mov_b32_e32 v4, s10
	v_mov_b32_e32 v5, s11
	s_cmp_eq_u32 s33, s14
	v_cmp_ge_u64_e32 vcc, s[0:1], v[4:5]
	s_cselect_b64 s[28:29], -1, 0
	s_mov_b32 s11, 0
	s_mul_i32 s10, s33, 0xe00
	s_and_b64 s[14:15], vcc, s[28:29]
	s_lshl_b64 s[0:1], s[10:11], 3
	s_xor_b64 s[30:31], s[14:15], -1
	s_add_u32 s0, s4, s0
	s_mov_b64 s[12:13], -1
	s_addc_u32 s1, s5, s1
	s_and_b64 vcc, exec, s[30:31]
	s_waitcnt vmcnt(0)
	v_readfirstlane_b32 s22, v2
	v_readfirstlane_b32 s23, v3
	s_cbranch_vccz .LBB53_6
; %bb.5:
	v_lshlrev_b32_e32 v2, 3, v0
	v_mov_b32_e32 v3, v1
	v_lshl_add_u64 v[4:5], s[0:1], 0, v[2:3]
	v_add_co_u32_e32 v8, vcc, 0x1000, v4
	global_load_dwordx2 v[6:7], v2, s[0:1]
	s_nop 0
	v_addc_co_u32_e32 v9, vcc, 0, v5, vcc
	v_add_co_u32_e32 v10, vcc, 0x2000, v4
	s_mov_b64 s[12:13], 0
	s_nop 0
	v_addc_co_u32_e32 v11, vcc, 0, v5, vcc
	v_add_co_u32_e32 v12, vcc, 0x3000, v4
	s_nop 1
	v_addc_co_u32_e32 v13, vcc, 0, v5, vcc
	v_add_co_u32_e32 v14, vcc, 0x4000, v4
	s_nop 1
	v_addc_co_u32_e32 v15, vcc, 0, v5, vcc
	global_load_dwordx2 v[16:17], v[8:9], off
	global_load_dwordx2 v[18:19], v[10:11], off
	;; [unrolled: 1-line block ×4, first 2 shown]
	v_add_co_u32_e32 v8, vcc, 0x5000, v4
	s_nop 1
	v_addc_co_u32_e32 v9, vcc, 0, v5, vcc
	v_add_co_u32_e32 v4, vcc, 0x6000, v4
	global_load_dwordx2 v[8:9], v[8:9], off
	s_nop 0
	v_addc_co_u32_e32 v5, vcc, 0, v5, vcc
	global_load_dwordx2 v[4:5], v[4:5], off
	s_waitcnt vmcnt(5)
	ds_write2st64_b64 v2, v[6:7], v[16:17] offset1:8
	s_waitcnt vmcnt(3)
	ds_write2st64_b64 v2, v[18:19], v[20:21] offset0:16 offset1:24
	s_waitcnt vmcnt(1)
	ds_write2st64_b64 v2, v[22:23], v[8:9] offset0:32 offset1:40
	s_waitcnt vmcnt(0)
	ds_write_b64 v2, v[4:5] offset:24576
	s_waitcnt lgkmcnt(0)
	s_barrier
.LBB53_6:
	s_andn2_b64 vcc, exec, s[12:13]
	s_addk_i32 s38, 0xe00
	s_cbranch_vccnz .LBB53_22
; %bb.7:
	v_cmp_gt_u32_e32 vcc, s38, v0
                                        ; implicit-def: $vgpr2_vgpr3_vgpr4_vgpr5_vgpr6_vgpr7_vgpr8_vgpr9_vgpr10_vgpr11_vgpr12_vgpr13_vgpr14_vgpr15_vgpr16_vgpr17
	s_and_saveexec_b64 s[4:5], vcc
	s_cbranch_execz .LBB53_9
; %bb.8:
	v_lshlrev_b32_e32 v1, 3, v0
	global_load_dwordx2 v[2:3], v1, s[0:1]
.LBB53_9:
	s_or_b64 exec, exec, s[4:5]
	v_or_b32_e32 v1, 0x200, v0
	v_cmp_gt_u32_e32 vcc, s38, v1
	s_and_saveexec_b64 s[4:5], vcc
	s_cbranch_execz .LBB53_11
; %bb.10:
	v_lshlrev_b32_e32 v1, 3, v1
	global_load_dwordx2 v[4:5], v1, s[0:1]
.LBB53_11:
	s_or_b64 exec, exec, s[4:5]
	v_or_b32_e32 v1, 0x400, v0
	v_cmp_gt_u32_e32 vcc, s38, v1
	;; [unrolled: 9-line block ×6, first 2 shown]
	s_and_saveexec_b64 s[4:5], vcc
	s_cbranch_execz .LBB53_21
; %bb.20:
	v_lshlrev_b32_e32 v1, 3, v1
	global_load_dwordx2 v[14:15], v1, s[0:1]
.LBB53_21:
	s_or_b64 exec, exec, s[4:5]
	v_lshlrev_b32_e32 v1, 3, v0
	s_waitcnt vmcnt(0)
	ds_write2st64_b64 v1, v[2:3], v[4:5] offset1:8
	ds_write2st64_b64 v1, v[6:7], v[8:9] offset0:16 offset1:24
	ds_write2st64_b64 v1, v[10:11], v[12:13] offset0:32 offset1:40
	ds_write_b64 v1, v[14:15] offset:24576
	v_mov_b32_e32 v1, 0
	s_waitcnt lgkmcnt(0)
	s_barrier
.LBB53_22:
	v_mul_u32_u24_e32 v34, 7, v0
	v_lshlrev_b32_e32 v43, 3, v34
	ds_read2_b64 v[22:25], v43 offset1:1
	ds_read2_b64 v[18:21], v43 offset0:2 offset1:3
	ds_read2_b64 v[14:17], v43 offset0:4 offset1:5
	ds_read_b64 v[28:29], v43 offset:48
	s_add_u32 s4, s8, s6
	s_addc_u32 s5, s9, s7
	s_add_u32 s4, s4, s10
	s_addc_u32 s5, s5, 0
	v_lshl_add_u64 v[2:3], v[0:1], 0, s[4:5]
	s_mov_b64 s[8:9], -1
	s_and_b64 vcc, exec, s[30:31]
	s_waitcnt lgkmcnt(0)
	s_barrier
	s_cbranch_vccz .LBB53_24
; %bb.23:
	s_mov_b64 s[8:9], 0x200
	v_lshl_add_u64 v[4:5], v[2:3], 0, s[8:9]
	s_mov_b64 s[8:9], 0x400
	v_lshl_add_u64 v[6:7], v[2:3], 0, s[8:9]
	;; [unrolled: 2-line block ×5, first 2 shown]
	s_mov_b64 s[8:9], 0xc00
	v_lshlrev_b32_e32 v1, 3, v0
	v_lshl_add_u64 v[26:27], v[2:3], 0, s[8:9]
	ds_write2st64_b64 v1, v[2:3], v[4:5] offset1:8
	ds_write2st64_b64 v1, v[6:7], v[8:9] offset0:16 offset1:24
	ds_write2st64_b64 v1, v[10:11], v[12:13] offset0:32 offset1:40
	ds_write_b64 v1, v[26:27] offset:24576
	s_waitcnt lgkmcnt(0)
	s_barrier
	s_mov_b64 s[8:9], 0
.LBB53_24:
	s_andn2_b64 vcc, exec, s[8:9]
	s_cbranch_vccnz .LBB53_26
; %bb.25:
	v_or_b32_e32 v4, 0x200, v0
	v_mov_b32_e32 v5, 0
	v_lshl_add_u64 v[6:7], s[4:5], 0, v[4:5]
	v_or_b32_e32 v4, 0x400, v0
	v_lshl_add_u64 v[8:9], s[4:5], 0, v[4:5]
	v_or_b32_e32 v4, 0x600, v0
	;; [unrolled: 2-line block ×5, first 2 shown]
	v_lshl_add_u64 v[4:5], s[4:5], 0, v[4:5]
	s_movk_i32 s4, 0xffd0
	v_mad_i32_i24 v1, v0, s4, v43
	ds_write2st64_b64 v1, v[2:3], v[6:7] offset1:8
	ds_write2st64_b64 v1, v[8:9], v[10:11] offset0:16 offset1:24
	ds_write2st64_b64 v1, v[12:13], v[26:27] offset0:32 offset1:40
	ds_write_b64 v1, v[4:5] offset:24576
	s_waitcnt lgkmcnt(0)
	s_barrier
.LBB53_26:
	ds_read2_b64 v[10:13], v43 offset1:1
	ds_read2_b64 v[6:9], v43 offset0:2 offset1:3
	ds_read2_b64 v[2:5], v43 offset0:4 offset1:5
	ds_read_b64 v[26:27], v43 offset:48
	s_cmp_lg_u32 s33, 0
	s_cselect_b64 s[16:17], -1, 0
	s_cmp_lg_u64 s[6:7], 0
	s_cselect_b64 s[4:5], -1, 0
	s_or_b64 s[4:5], s[4:5], s[16:17]
	v_add_u32_e32 v37, 1, v34
	v_add_u32_e32 v1, 2, v34
	v_add_u32_e32 v38, 3, v34
	v_add_u32_e32 v35, 4, v34
	v_add_u32_e32 v39, 5, v34
	v_add_u32_e32 v36, 6, v34
	s_mov_b64 s[36:37], 0
	s_and_b64 vcc, exec, s[4:5]
	s_waitcnt lgkmcnt(0)
	s_barrier
	s_cbranch_vccz .LBB53_31
; %bb.27:
	v_mov_b32_e32 v30, 0
	global_load_dwordx2 v[30:31], v30, s[0:1] offset:-8
	v_lshlrev_b32_e32 v44, 3, v0
	s_and_b64 vcc, exec, s[30:31]
	ds_write_b64 v44, v[28:29]
	s_cbranch_vccz .LBB53_33
; %bb.28:
	s_waitcnt vmcnt(0)
	v_mov_b64_e32 v[32:33], v[30:31]
	s_waitcnt lgkmcnt(0)
	s_barrier
	s_and_saveexec_b64 s[0:1], s[2:3]
	s_cbranch_execz .LBB53_30
; %bb.29:
	v_add_u32_e32 v32, -8, v44
	ds_read_b64 v[32:33], v32
.LBB53_30:
	s_or_b64 exec, exec, s[0:1]
	v_cmp_ne_u64_e32 vcc, v[16:17], v[28:29]
	s_waitcnt lgkmcnt(0)
	v_cmp_ne_u64_e64 s[0:1], v[32:33], v[22:23]
	v_cndmask_b32_e64 v42, 0, 1, vcc
	v_cmp_ne_u64_e32 vcc, v[14:15], v[16:17]
	s_nop 1
	v_cndmask_b32_e64 v40, 0, 1, vcc
	v_cmp_ne_u64_e32 vcc, v[20:21], v[14:15]
	s_nop 1
	;; [unrolled: 3-line block ×3, first 2 shown]
	v_cndmask_b32_e64 v45, 0, 1, vcc
	v_cmp_ne_u64_e32 vcc, v[24:25], v[18:19]
	v_lshlrev_b16_e32 v32, 8, v45
	s_nop 0
	v_cndmask_b32_e64 v46, 0, 1, vcc
	v_cmp_ne_u64_e32 vcc, v[22:23], v[24:25]
	v_or_b32_sdwa v32, v46, v32 dst_sel:WORD_1 dst_unused:UNUSED_PAD src0_sel:DWORD src1_sel:DWORD
	s_nop 0
	v_cndmask_b32_e64 v47, 0, 1, vcc
	v_lshlrev_b16_e32 v33, 8, v47
	v_or_b32_e32 v32, v33, v32
	s_branch .LBB53_37
.LBB53_31:
                                        ; implicit-def: $sgpr0_sgpr1
                                        ; implicit-def: $vgpr42
                                        ; implicit-def: $vgpr40
                                        ; implicit-def: $vgpr41
                                        ; implicit-def: $vgpr32
	s_branch .LBB53_38
.LBB53_32:
                                        ; implicit-def: $vgpr30_vgpr31
	s_and_saveexec_b64 s[2:3], s[36:37]
	s_cbranch_execnz .LBB53_46
	s_branch .LBB53_47
.LBB53_33:
                                        ; implicit-def: $sgpr0_sgpr1
                                        ; implicit-def: $vgpr42
                                        ; implicit-def: $vgpr40
                                        ; implicit-def: $vgpr41
                                        ; implicit-def: $vgpr32
	s_cbranch_execz .LBB53_37
; %bb.34:
	s_waitcnt lgkmcnt(0)
	s_barrier
	s_and_saveexec_b64 s[0:1], s[2:3]
	s_cbranch_execz .LBB53_36
; %bb.35:
	s_waitcnt vmcnt(0)
	v_add_u32_e32 v30, -8, v44
	ds_read_b64 v[30:31], v30
.LBB53_36:
	s_or_b64 exec, exec, s[0:1]
	v_cmp_gt_u32_e32 vcc, s38, v36
	v_cmp_ne_u64_e64 s[0:1], v[16:17], v[28:29]
	s_and_b64 s[0:1], vcc, s[0:1]
	v_cmp_gt_u32_e32 vcc, s38, v39
	v_cndmask_b32_e64 v42, 0, 1, s[0:1]
	v_cmp_ne_u64_e64 s[0:1], v[14:15], v[16:17]
	s_and_b64 s[0:1], vcc, s[0:1]
	v_cmp_gt_u32_e32 vcc, s38, v35
	v_cndmask_b32_e64 v40, 0, 1, s[0:1]
	;; [unrolled: 4-line block ×6, first 2 shown]
	s_waitcnt vmcnt(0) lgkmcnt(0)
	v_cmp_ne_u64_e64 s[0:1], v[30:31], v[22:23]
	v_lshlrev_b16_e32 v30, 8, v32
	v_or_b32_sdwa v30, v33, v30 dst_sel:WORD_1 dst_unused:UNUSED_PAD src0_sel:DWORD src1_sel:DWORD
	v_lshlrev_b16_e32 v31, 8, v44
	s_and_b64 s[0:1], vcc, s[0:1]
	v_or_b32_e32 v32, v31, v30
.LBB53_37:
	s_mov_b64 s[36:37], -1
	s_cbranch_execnz .LBB53_32
.LBB53_38:
	s_movk_i32 s0, 0xffd0
	v_mad_i32_i24 v33, v0, s0, v43
	s_and_b64 vcc, exec, s[30:31]
	v_cmp_ne_u64_e64 s[0:1], v[16:17], v[28:29]
	v_cmp_ne_u64_e64 s[4:5], v[14:15], v[16:17]
	v_cmp_ne_u64_e64 s[6:7], v[20:21], v[14:15]
	v_cmp_ne_u64_e64 s[8:9], v[18:19], v[20:21]
	v_cmp_ne_u64_e64 s[10:11], v[24:25], v[18:19]
	v_cmp_ne_u64_e64 s[12:13], v[22:23], v[24:25]
	ds_write_b64 v33, v[28:29]
	s_cbranch_vccz .LBB53_42
; %bb.39:
	v_cndmask_b32_e64 v40, 0, 1, s[4:5]
	s_waitcnt vmcnt(0)
	v_cndmask_b32_e64 v30, 0, 1, s[8:9]
	v_cndmask_b32_e64 v41, 0, 1, s[6:7]
	;; [unrolled: 1-line block ×4, first 2 shown]
	v_lshlrev_b16_e32 v31, 8, v40
	v_lshlrev_b16_e32 v30, 8, v30
	v_or_b32_e32 v31, v41, v31
	v_or_b32_sdwa v30, v32, v30 dst_sel:WORD_1 dst_unused:UNUSED_PAD src0_sel:DWORD src1_sel:DWORD
	v_lshlrev_b16_e32 v32, 8, v43
	v_and_b32_e32 v31, 0xffff, v31
	v_cndmask_b32_e64 v42, 0, 1, s[0:1]
	v_or_b32_e32 v32, 1, v32
	v_lshl_or_b32 v31, v42, 16, v31
	v_or_b32_sdwa v30, v32, v30 dst_sel:DWORD dst_unused:UNUSED_PAD src0_sel:WORD_0 src1_sel:DWORD
	s_waitcnt lgkmcnt(0)
	s_barrier
	s_waitcnt lgkmcnt(0)
                                        ; implicit-def: $sgpr0_sgpr1
                                        ; implicit-def: $vgpr32
	s_and_saveexec_b64 s[4:5], s[2:3]
	s_xor_b64 s[4:5], exec, s[4:5]
	s_cbranch_execz .LBB53_41
; %bb.40:
	v_add_u32_e32 v31, -8, v33
	ds_read_b64 v[44:45], v31
	s_mov_b32 s0, 0x3020104
	v_perm_b32 v32, v30, v30, s0
	s_or_b64 s[36:37], s[36:37], exec
                                        ; implicit-def: $vgpr30_vgpr31
	s_waitcnt lgkmcnt(0)
	v_cmp_ne_u64_e32 vcc, v[44:45], v[22:23]
	s_and_b64 s[0:1], vcc, exec
.LBB53_41:
	s_or_b64 exec, exec, s[4:5]
	s_branch .LBB53_45
.LBB53_42:
                                        ; implicit-def: $sgpr0_sgpr1
                                        ; implicit-def: $vgpr42
                                        ; implicit-def: $vgpr40
                                        ; implicit-def: $vgpr41
                                        ; implicit-def: $vgpr32
                                        ; implicit-def: $vgpr30_vgpr31
	s_cbranch_execz .LBB53_45
; %bb.43:
	v_cmp_gt_u32_e64 s[4:5], s38, v39
	v_cmp_ne_u64_e64 s[6:7], v[14:15], v[16:17]
	s_and_b64 s[4:5], s[4:5], s[6:7]
	v_cndmask_b32_e64 v40, 0, 1, s[4:5]
	v_cmp_gt_u32_e64 s[4:5], s38, v35
	v_cmp_ne_u64_e64 s[6:7], v[20:21], v[14:15]
	s_and_b64 s[4:5], s[4:5], s[6:7]
	v_cndmask_b32_e64 v41, 0, 1, s[4:5]
	v_cmp_gt_u32_e64 s[4:5], s38, v38
	v_cmp_ne_u64_e64 s[6:7], v[18:19], v[20:21]
	s_and_b64 s[4:5], s[4:5], s[6:7]
	s_waitcnt vmcnt(0)
	v_cndmask_b32_e64 v30, 0, 1, s[4:5]
	v_cmp_gt_u32_e64 s[4:5], s38, v1
	v_cmp_ne_u64_e64 s[6:7], v[24:25], v[18:19]
	s_and_b64 s[4:5], s[4:5], s[6:7]
	v_cndmask_b32_e64 v32, 0, 1, s[4:5]
	v_cmp_gt_u32_e64 s[4:5], s38, v37
	v_cmp_ne_u64_e64 s[6:7], v[22:23], v[24:25]
	s_and_b64 s[4:5], s[4:5], s[6:7]
	v_cmp_gt_u32_e32 vcc, s38, v36
	v_cmp_ne_u64_e64 s[0:1], v[16:17], v[28:29]
	v_cndmask_b32_e64 v43, 0, 1, s[4:5]
	v_lshlrev_b16_e32 v31, 8, v40
	v_lshlrev_b16_e32 v30, 8, v30
	v_or_b32_e32 v31, v41, v31
	s_and_b64 s[0:1], vcc, s[0:1]
	v_or_b32_sdwa v30, v32, v30 dst_sel:WORD_1 dst_unused:UNUSED_PAD src0_sel:DWORD src1_sel:DWORD
	v_lshlrev_b16_e32 v32, 8, v43
	v_and_b32_e32 v31, 0xffff, v31
	v_cndmask_b32_e64 v42, 0, 1, s[0:1]
	v_or_b32_e32 v32, 1, v32
	v_lshl_or_b32 v31, v42, 16, v31
	v_or_b32_sdwa v30, v32, v30 dst_sel:DWORD dst_unused:UNUSED_PAD src0_sel:WORD_0 src1_sel:DWORD
	s_waitcnt lgkmcnt(0)
	s_barrier
	s_waitcnt lgkmcnt(0)
                                        ; implicit-def: $sgpr0_sgpr1
                                        ; implicit-def: $vgpr32
	s_and_saveexec_b64 s[4:5], s[2:3]
	s_cbranch_execz .LBB53_177
; %bb.44:
	v_add_u32_e32 v31, -8, v33
	ds_read_b64 v[44:45], v31
	s_mov_b32 s0, 0x3020104
	v_cmp_gt_u32_e32 vcc, s38, v34
	v_perm_b32 v32, v30, v30, s0
	s_or_b64 s[36:37], s[36:37], exec
	s_waitcnt lgkmcnt(0)
	v_cmp_ne_u64_e64 s[0:1], v[44:45], v[22:23]
	s_and_b64 s[0:1], vcc, s[0:1]
	s_and_b64 s[0:1], s[0:1], exec
                                        ; implicit-def: $vgpr30_vgpr31
	s_or_b64 exec, exec, s[4:5]
.LBB53_45:
	s_and_saveexec_b64 s[2:3], s[36:37]
	s_cbranch_execz .LBB53_47
.LBB53_46:
	s_waitcnt vmcnt(0)
	v_lshlrev_b16_e32 v31, 8, v40
	v_and_b32_e32 v33, 0xff, v42
	v_or_b32_sdwa v31, v41, v31 dst_sel:DWORD dst_unused:UNUSED_PAD src0_sel:BYTE_0 src1_sel:DWORD
	v_lshlrev_b32_e32 v33, 16, v33
	v_cndmask_b32_e64 v30, 0, 1, s[0:1]
	s_movk_i32 s0, 0xff
	v_or_b32_sdwa v31, v31, v33 dst_sel:DWORD dst_unused:UNUSED_PAD src0_sel:WORD_0 src1_sel:DWORD
	v_lshrrev_b32_e32 v33, 24, v32
	v_lshlrev_b16_e32 v33, 8, v33
	v_and_b32_sdwa v40, v32, s0 dst_sel:DWORD dst_unused:UNUSED_PAD src0_sel:WORD_1 src1_sel:DWORD
	v_or_b32_sdwa v33, v40, v33 dst_sel:WORD_1 dst_unused:UNUSED_PAD src0_sel:DWORD src1_sel:DWORD
	v_mov_b32_e32 v40, 8
	v_lshrrev_b32_sdwa v32, v40, v32 dst_sel:BYTE_1 dst_unused:UNUSED_PAD src0_sel:DWORD src1_sel:DWORD
	s_nop 0
	v_or_b32_e32 v30, v30, v32
	v_or_b32_sdwa v30, v30, v33 dst_sel:DWORD dst_unused:UNUSED_PAD src0_sel:WORD_0 src1_sel:DWORD
.LBB53_47:
	s_or_b64 exec, exec, s[2:3]
	s_andn2_b64 vcc, exec, s[14:15]
	s_cbranch_vccnz .LBB53_49
; %bb.48:
	s_waitcnt vmcnt(0)
	v_and_b32_e32 v32, 0xffff0000, v30
	v_cmp_gt_u32_e32 vcc, s38, v34
	s_mov_b32 s0, 0x40c0100
	s_nop 0
	v_cndmask_b32_e32 v32, v32, v30, vcc
	v_and_b32_e32 v32, 0xffff00ff, v32
	v_cmp_gt_u32_e32 vcc, s38, v37
	s_nop 1
	v_cndmask_b32_e32 v32, v32, v30, vcc
	v_lshrrev_b32_e32 v33, 24, v32
	v_perm_b32 v32, v33, v32, s0
	v_cmp_gt_u32_e32 vcc, s38, v1
	s_nop 1
	v_cndmask_b32_e32 v1, v32, v30, vcc
	v_and_b32_e32 v1, 0xffffff, v1
	v_cmp_gt_u32_e32 vcc, s38, v38
	v_and_b32_e32 v32, 0xffffff00, v31
	s_nop 0
	v_cndmask_b32_e32 v1, v1, v30, vcc
	v_cmp_gt_u32_e32 vcc, s38, v35
	s_nop 1
	v_cndmask_b32_e32 v32, v32, v31, vcc
	v_and_b32_e32 v32, 0xffff00ff, v32
	v_cndmask_b32_e32 v1, v1, v30, vcc
	v_cmp_gt_u32_e32 vcc, s38, v39
	s_nop 1
	v_cndmask_b32_e32 v32, v32, v31, vcc
	v_lshrrev_b32_e32 v33, 24, v32
	v_cndmask_b32_e32 v1, v1, v30, vcc
	v_perm_b32 v32, v33, v32, s0
	v_cmp_gt_u32_e32 vcc, s38, v36
	s_mov_b32 s0, 0x3020104
	s_nop 0
	v_cndmask_b32_e32 v1, v1, v30, vcc
	v_cndmask_b32_e32 v30, v32, v31, vcc
	v_mov_b32_e32 v31, 8
	v_lshrrev_b32_sdwa v31, v31, v30 dst_sel:BYTE_1 dst_unused:UNUSED_PAD src0_sel:DWORD src1_sel:DWORD
	s_nop 0
	v_or_b32_sdwa v31, v30, v31 dst_sel:DWORD dst_unused:UNUSED_PAD src0_sel:BYTE_0 src1_sel:DWORD
	v_and_b32_e32 v31, 0xffff, v31
	v_bfe_u32 v30, v30, 16, 8
	v_lshl_or_b32 v31, v30, 16, v31
	v_perm_b32 v30, v1, v1, s0
.LBB53_49:
	s_waitcnt vmcnt(0)
	v_and_b32_e32 v1, 0xff, v30
	v_bfe_u32 v43, v30, 8, 8
	v_bfe_u32 v45, v30, 16, 8
	v_alignbit_b32 v32, v31, v30, 24
	v_and_b32_e32 v47, 0xff, v32
	v_and_b32_e32 v48, 0xff, v31
	v_add3_u32 v33, v43, v1, v45
	v_bfe_u32 v49, v31, 8, 8
	v_bfe_u32 v32, v31, 16, 8
	v_add3_u32 v33, v33, v47, v48
	v_add3_u32 v52, v33, v49, v32
	v_mbcnt_lo_u32_b32 v32, -1, 0
	v_mbcnt_hi_u32_b32 v50, -1, v32
	v_and_b32_e32 v32, 15, v50
	v_cmp_eq_u32_e64 s[14:15], 0, v32
	v_cmp_lt_u32_e64 s[12:13], 1, v32
	v_cmp_lt_u32_e64 s[10:11], 3, v32
	;; [unrolled: 1-line block ×3, first 2 shown]
	v_and_b32_e32 v32, 16, v50
	v_cmp_eq_u32_e64 s[6:7], 0, v32
	v_or_b32_e32 v32, 63, v0
	v_cmp_lt_u32_e64 s[2:3], 31, v50
	v_lshrrev_b32_e32 v51, 6, v0
	v_cmp_eq_u32_e64 s[4:5], v32, v0
	s_and_b64 vcc, exec, s[16:17]
	s_waitcnt lgkmcnt(0)
	s_barrier
	s_cbranch_vccz .LBB53_80
; %bb.50:
	v_mov_b32_dpp v32, v52 row_shr:1 row_mask:0xf bank_mask:0xf
	v_cndmask_b32_e64 v32, v32, 0, s[14:15]
	v_add_u32_e32 v32, v32, v52
	s_nop 1
	v_mov_b32_dpp v33, v32 row_shr:2 row_mask:0xf bank_mask:0xf
	v_cndmask_b32_e64 v33, 0, v33, s[12:13]
	v_add_u32_e32 v32, v32, v33
	s_nop 1
	;; [unrolled: 4-line block ×4, first 2 shown]
	v_mov_b32_dpp v33, v32 row_bcast:15 row_mask:0xf bank_mask:0xf
	v_cndmask_b32_e64 v33, v33, 0, s[6:7]
	v_add_u32_e32 v32, v32, v33
	s_nop 1
	v_mov_b32_dpp v33, v32 row_bcast:31 row_mask:0xf bank_mask:0xf
	v_cndmask_b32_e64 v33, 0, v33, s[2:3]
	v_add_u32_e32 v32, v32, v33
	s_and_saveexec_b64 s[0:1], s[4:5]
	s_cbranch_execz .LBB53_52
; %bb.51:
	v_lshlrev_b32_e32 v33, 2, v51
	ds_write_b32 v33, v32
.LBB53_52:
	s_or_b64 exec, exec, s[0:1]
	v_cmp_gt_u32_e32 vcc, 8, v0
	s_waitcnt lgkmcnt(0)
	s_barrier
	s_and_saveexec_b64 s[0:1], vcc
	s_cbranch_execz .LBB53_54
; %bb.53:
	v_lshlrev_b32_e32 v33, 2, v0
	ds_read_b32 v34, v33
	v_and_b32_e32 v35, 7, v50
	v_cmp_ne_u32_e32 vcc, 0, v35
	s_waitcnt lgkmcnt(0)
	v_mov_b32_dpp v36, v34 row_shr:1 row_mask:0xf bank_mask:0xf
	v_cndmask_b32_e32 v36, 0, v36, vcc
	v_add_u32_e32 v34, v36, v34
	v_cmp_lt_u32_e32 vcc, 1, v35
	s_nop 0
	v_mov_b32_dpp v36, v34 row_shr:2 row_mask:0xf bank_mask:0xf
	v_cndmask_b32_e32 v36, 0, v36, vcc
	v_add_u32_e32 v34, v34, v36
	v_cmp_lt_u32_e32 vcc, 3, v35
	s_nop 0
	v_mov_b32_dpp v36, v34 row_shr:4 row_mask:0xf bank_mask:0xf
	v_cndmask_b32_e32 v35, 0, v36, vcc
	v_add_u32_e32 v34, v34, v35
	ds_write_b32 v33, v34
.LBB53_54:
	s_or_b64 exec, exec, s[0:1]
	v_cmp_gt_u32_e32 vcc, 64, v0
	v_cmp_lt_u32_e64 s[0:1], 63, v0
	s_waitcnt lgkmcnt(0)
	s_barrier
	s_waitcnt lgkmcnt(0)
                                        ; implicit-def: $vgpr42
	s_and_saveexec_b64 s[16:17], s[0:1]
	s_cbranch_execz .LBB53_56
; %bb.55:
	v_lshl_add_u32 v33, v51, 2, -4
	ds_read_b32 v42, v33
	s_waitcnt lgkmcnt(0)
	v_add_u32_e32 v32, v42, v32
.LBB53_56:
	s_or_b64 exec, exec, s[16:17]
	v_add_u32_e32 v33, -1, v50
	v_and_b32_e32 v34, 64, v50
	v_cmp_lt_i32_e64 s[0:1], v33, v34
	v_cmp_eq_u32_e64 s[16:17], 0, v50
	s_nop 0
	v_cndmask_b32_e64 v33, v33, v50, s[0:1]
	v_lshlrev_b32_e32 v33, 2, v33
	ds_bpermute_b32 v44, v33, v32
	s_and_saveexec_b64 s[0:1], vcc
	s_cbranch_execz .LBB53_79
; %bb.57:
	v_mov_b32_e32 v41, 0
	ds_read_b32 v32, v41 offset:28
	s_and_saveexec_b64 s[36:37], s[16:17]
	s_cbranch_execz .LBB53_59
; %bb.58:
	s_add_i32 s38, s33, 64
	s_mov_b32 s39, 0
	s_lshl_b64 s[38:39], s[38:39], 3
	s_add_u32 s38, s34, s38
	v_mov_b32_e32 v33, 1
	s_addc_u32 s39, s35, s39
	s_waitcnt lgkmcnt(0)
	global_store_dwordx2 v41, v[32:33], s[38:39] sc1
.LBB53_59:
	s_or_b64 exec, exec, s[36:37]
	v_xad_u32 v34, v50, -1, s33
	v_add_u32_e32 v40, 64, v34
	v_lshl_add_u64 v[36:37], v[40:41], 3, s[34:35]
	global_load_dwordx2 v[38:39], v[36:37], off sc1
	s_waitcnt vmcnt(0)
	v_cmp_eq_u16_sdwa s[38:39], v39, v41 src0_sel:BYTE_0 src1_sel:DWORD
	s_and_saveexec_b64 s[36:37], s[38:39]
	s_cbranch_execz .LBB53_65
; %bb.60:
	s_mov_b32 s40, 1
	s_mov_b64 s[38:39], 0
	v_mov_b32_e32 v33, 0
.LBB53_61:                              ; =>This Loop Header: Depth=1
                                        ;     Child Loop BB53_62 Depth 2
	s_max_u32 s41, s40, 1
.LBB53_62:                              ;   Parent Loop BB53_61 Depth=1
                                        ; =>  This Inner Loop Header: Depth=2
	s_add_i32 s41, s41, -1
	s_cmp_eq_u32 s41, 0
	s_sleep 1
	s_cbranch_scc0 .LBB53_62
; %bb.63:                               ;   in Loop: Header=BB53_61 Depth=1
	global_load_dwordx2 v[38:39], v[36:37], off sc1
	s_cmp_lt_u32 s40, 32
	s_cselect_b64 s[42:43], -1, 0
	s_cmp_lg_u64 s[42:43], 0
	s_addc_u32 s40, s40, 0
	s_waitcnt vmcnt(0)
	v_cmp_ne_u16_sdwa s[42:43], v39, v33 src0_sel:BYTE_0 src1_sel:DWORD
	s_or_b64 s[38:39], s[42:43], s[38:39]
	s_andn2_b64 exec, exec, s[38:39]
	s_cbranch_execnz .LBB53_61
; %bb.64:
	s_or_b64 exec, exec, s[38:39]
.LBB53_65:
	s_or_b64 exec, exec, s[36:37]
	v_and_b32_e32 v53, 63, v50
	v_mov_b32_e32 v46, 2
	v_cmp_ne_u32_e32 vcc, 63, v53
	v_cmp_eq_u16_sdwa s[36:37], v39, v46 src0_sel:BYTE_0 src1_sel:DWORD
	v_lshlrev_b64 v[36:37], v50, -1
	v_addc_co_u32_e32 v40, vcc, 0, v50, vcc
	v_and_b32_e32 v33, s37, v37
	v_lshlrev_b32_e32 v54, 2, v40
	v_or_b32_e32 v33, 0x80000000, v33
	ds_bpermute_b32 v40, v54, v38
	v_and_b32_e32 v35, s36, v36
	v_ffbl_b32_e32 v33, v33
	v_add_u32_e32 v33, 32, v33
	v_ffbl_b32_e32 v35, v35
	v_min_u32_e32 v33, v35, v33
	v_cmp_lt_u32_e32 vcc, v53, v33
	v_add_u32_e32 v56, 2, v53
	v_add_u32_e32 v58, 4, v53
	s_waitcnt lgkmcnt(0)
	v_cndmask_b32_e32 v35, 0, v40, vcc
	v_cmp_gt_u32_e32 vcc, 62, v53
	v_add_u32_e32 v35, v35, v38
	v_add_u32_e32 v60, 8, v53
	v_cndmask_b32_e64 v38, 0, 1, vcc
	v_lshlrev_b32_e32 v38, 1, v38
	v_add_lshl_u32 v55, v38, v50, 2
	ds_bpermute_b32 v38, v55, v35
	v_cmp_le_u32_e32 vcc, v56, v33
	v_add_u32_e32 v62, 16, v53
	v_add_u32_e32 v64, 32, v53
	s_waitcnt lgkmcnt(0)
	v_cndmask_b32_e32 v38, 0, v38, vcc
	v_cmp_gt_u32_e32 vcc, 60, v53
	v_add_u32_e32 v35, v35, v38
	s_nop 0
	v_cndmask_b32_e64 v38, 0, 1, vcc
	v_lshlrev_b32_e32 v38, 2, v38
	v_add_lshl_u32 v57, v38, v50, 2
	ds_bpermute_b32 v38, v57, v35
	v_cmp_le_u32_e32 vcc, v58, v33
	s_waitcnt lgkmcnt(0)
	s_nop 0
	v_cndmask_b32_e32 v38, 0, v38, vcc
	v_cmp_gt_u32_e32 vcc, 56, v53
	v_add_u32_e32 v35, v35, v38
	s_nop 0
	v_cndmask_b32_e64 v38, 0, 1, vcc
	v_lshlrev_b32_e32 v38, 3, v38
	v_add_lshl_u32 v59, v38, v50, 2
	ds_bpermute_b32 v38, v59, v35
	v_cmp_le_u32_e32 vcc, v60, v33
	s_waitcnt lgkmcnt(0)
	s_nop 0
	;; [unrolled: 11-line block ×4, first 2 shown]
	v_cndmask_b32_e32 v33, 0, v38, vcc
	v_add_u32_e32 v38, v35, v33
	v_mov_b32_e32 v35, 0
	s_branch .LBB53_67
.LBB53_66:                              ;   in Loop: Header=BB53_67 Depth=1
	s_or_b64 exec, exec, s[36:37]
	v_cmp_eq_u16_sdwa s[36:37], v39, v46 src0_sel:BYTE_0 src1_sel:DWORD
	ds_bpermute_b32 v65, v54, v38
	v_subrev_u32_e32 v34, 64, v34
	v_and_b32_e32 v40, s37, v37
	v_or_b32_e32 v40, 0x80000000, v40
	v_and_b32_e32 v41, s36, v36
	v_ffbl_b32_e32 v40, v40
	v_add_u32_e32 v40, 32, v40
	v_ffbl_b32_e32 v41, v41
	v_min_u32_e32 v40, v41, v40
	v_cmp_lt_u32_e32 vcc, v53, v40
	s_waitcnt lgkmcnt(0)
	s_nop 0
	v_cndmask_b32_e32 v41, 0, v65, vcc
	v_add_u32_e32 v38, v41, v38
	ds_bpermute_b32 v41, v55, v38
	v_cmp_le_u32_e32 vcc, v56, v40
	s_waitcnt lgkmcnt(0)
	s_nop 0
	v_cndmask_b32_e32 v41, 0, v41, vcc
	v_add_u32_e32 v38, v38, v41
	ds_bpermute_b32 v41, v57, v38
	v_cmp_le_u32_e32 vcc, v58, v40
	;; [unrolled: 6-line block ×5, first 2 shown]
	s_waitcnt lgkmcnt(0)
	s_nop 0
	v_cndmask_b32_e32 v40, 0, v41, vcc
	v_add3_u32 v38, v40, v33, v38
.LBB53_67:                              ; =>This Loop Header: Depth=1
                                        ;     Child Loop BB53_70 Depth 2
                                        ;       Child Loop BB53_71 Depth 3
	v_cmp_ne_u16_sdwa s[36:37], v39, v46 src0_sel:BYTE_0 src1_sel:DWORD
	s_nop 1
	v_cndmask_b32_e64 v33, 0, 1, s[36:37]
	;;#ASMSTART
	;;#ASMEND
	s_nop 0
	v_cmp_ne_u32_e32 vcc, 0, v33
	s_cmp_lg_u64 vcc, exec
	v_mov_b32_e32 v33, v38
	s_cbranch_scc1 .LBB53_74
; %bb.68:                               ;   in Loop: Header=BB53_67 Depth=1
	v_lshl_add_u64 v[40:41], v[34:35], 3, s[34:35]
	global_load_dwordx2 v[38:39], v[40:41], off sc1
	s_waitcnt vmcnt(0)
	v_cmp_eq_u16_sdwa s[38:39], v39, v35 src0_sel:BYTE_0 src1_sel:DWORD
	s_and_saveexec_b64 s[36:37], s[38:39]
	s_cbranch_execz .LBB53_66
; %bb.69:                               ;   in Loop: Header=BB53_67 Depth=1
	s_mov_b32 s40, 1
	s_mov_b64 s[38:39], 0
.LBB53_70:                              ;   Parent Loop BB53_67 Depth=1
                                        ; =>  This Loop Header: Depth=2
                                        ;       Child Loop BB53_71 Depth 3
	s_max_u32 s41, s40, 1
.LBB53_71:                              ;   Parent Loop BB53_67 Depth=1
                                        ;     Parent Loop BB53_70 Depth=2
                                        ; =>    This Inner Loop Header: Depth=3
	s_add_i32 s41, s41, -1
	s_cmp_eq_u32 s41, 0
	s_sleep 1
	s_cbranch_scc0 .LBB53_71
; %bb.72:                               ;   in Loop: Header=BB53_70 Depth=2
	global_load_dwordx2 v[38:39], v[40:41], off sc1
	s_cmp_lt_u32 s40, 32
	s_cselect_b64 s[42:43], -1, 0
	s_cmp_lg_u64 s[42:43], 0
	s_addc_u32 s40, s40, 0
	s_waitcnt vmcnt(0)
	v_cmp_ne_u16_sdwa s[42:43], v39, v35 src0_sel:BYTE_0 src1_sel:DWORD
	s_or_b64 s[38:39], s[42:43], s[38:39]
	s_andn2_b64 exec, exec, s[38:39]
	s_cbranch_execnz .LBB53_70
; %bb.73:                               ;   in Loop: Header=BB53_67 Depth=1
	s_or_b64 exec, exec, s[38:39]
	s_branch .LBB53_66
.LBB53_74:                              ;   in Loop: Header=BB53_67 Depth=1
                                        ; implicit-def: $vgpr38
                                        ; implicit-def: $vgpr39
	s_cbranch_execz .LBB53_67
; %bb.75:
	s_and_saveexec_b64 s[36:37], s[16:17]
	s_cbranch_execz .LBB53_77
; %bb.76:
	s_add_i32 s38, s33, 64
	s_mov_b32 s39, 0
	s_lshl_b64 s[38:39], s[38:39], 3
	s_add_u32 s38, s34, s38
	v_add_u32_e32 v34, v33, v32
	v_mov_b32_e32 v35, 2
	s_addc_u32 s39, s35, s39
	v_mov_b32_e32 v36, 0
	global_store_dwordx2 v36, v[34:35], s[38:39] sc1
	ds_write_b64 v36, v[32:33] offset:28672
.LBB53_77:
	s_or_b64 exec, exec, s[36:37]
	s_and_b64 exec, exec, s[18:19]
	s_cbranch_execz .LBB53_79
; %bb.78:
	v_mov_b32_e32 v32, 0
	ds_write_b32 v32, v33 offset:28
.LBB53_79:
	s_or_b64 exec, exec, s[0:1]
	v_mov_b32_e32 v32, 0
	s_waitcnt lgkmcnt(0)
	s_barrier
	ds_read_b32 v33, v32 offset:28
	v_cndmask_b32_e64 v34, v44, v42, s[16:17]
	v_cndmask_b32_e64 v34, v34, 0, s[18:19]
	s_waitcnt lgkmcnt(0)
	s_barrier
	v_add_u32_e32 v46, v33, v34
	v_add_u32_e32 v44, v46, v1
	ds_read_b64 v[32:33], v32 offset:28672
	v_add_u32_e32 v42, v44, v43
	v_add_u32_e32 v40, v42, v45
	;; [unrolled: 1-line block ×5, first 2 shown]
	s_waitcnt lgkmcnt(0)
	v_readfirstlane_b32 s33, v32
	v_readfirstlane_b32 s16, v33
	v_lshrrev_b64 v[32:33], 24, v[30:31]
	s_branch .LBB53_90
.LBB53_80:
                                        ; implicit-def: $sgpr16
                                        ; implicit-def: $sgpr33
                                        ; implicit-def: $vgpr34
                                        ; implicit-def: $vgpr36
                                        ; implicit-def: $vgpr38
                                        ; implicit-def: $vgpr40
                                        ; implicit-def: $vgpr42
                                        ; implicit-def: $vgpr44
                                        ; implicit-def: $vgpr46
	v_lshrrev_b64 v[32:33], 24, v[30:31]
	s_cbranch_execz .LBB53_90
; %bb.81:
	s_nop 0
	v_mov_b32_dpp v33, v52 row_shr:1 row_mask:0xf bank_mask:0xf
	v_cndmask_b32_e64 v33, v33, 0, s[14:15]
	v_add_u32_e32 v33, v33, v52
	s_nop 1
	v_mov_b32_dpp v34, v33 row_shr:2 row_mask:0xf bank_mask:0xf
	v_cndmask_b32_e64 v34, 0, v34, s[12:13]
	v_add_u32_e32 v33, v33, v34
	s_nop 1
	v_mov_b32_dpp v34, v33 row_shr:4 row_mask:0xf bank_mask:0xf
	v_cndmask_b32_e64 v34, 0, v34, s[10:11]
	v_add_u32_e32 v33, v33, v34
	s_nop 1
	v_mov_b32_dpp v34, v33 row_shr:8 row_mask:0xf bank_mask:0xf
	v_cndmask_b32_e64 v34, 0, v34, s[8:9]
	v_add_u32_e32 v33, v33, v34
	s_nop 1
	v_mov_b32_dpp v34, v33 row_bcast:15 row_mask:0xf bank_mask:0xf
	v_cndmask_b32_e64 v34, v34, 0, s[6:7]
	v_add_u32_e32 v33, v33, v34
	s_nop 1
	v_mov_b32_dpp v34, v33 row_bcast:31 row_mask:0xf bank_mask:0xf
	v_cndmask_b32_e64 v34, 0, v34, s[2:3]
	v_add_u32_e32 v33, v33, v34
	s_and_saveexec_b64 s[0:1], s[4:5]
	s_cbranch_execz .LBB53_83
; %bb.82:
	v_lshlrev_b32_e32 v34, 2, v51
	ds_write_b32 v34, v33
.LBB53_83:
	s_or_b64 exec, exec, s[0:1]
	v_cmp_gt_u32_e32 vcc, 8, v0
	s_waitcnt lgkmcnt(0)
	s_barrier
	s_and_saveexec_b64 s[0:1], vcc
	s_cbranch_execz .LBB53_85
; %bb.84:
	v_lshlrev_b32_e32 v34, 2, v0
	ds_read_b32 v35, v34
	v_and_b32_e32 v36, 7, v50
	v_cmp_ne_u32_e32 vcc, 0, v36
	s_waitcnt lgkmcnt(0)
	v_mov_b32_dpp v37, v35 row_shr:1 row_mask:0xf bank_mask:0xf
	v_cndmask_b32_e32 v37, 0, v37, vcc
	v_add_u32_e32 v35, v37, v35
	v_cmp_lt_u32_e32 vcc, 1, v36
	s_nop 0
	v_mov_b32_dpp v37, v35 row_shr:2 row_mask:0xf bank_mask:0xf
	v_cndmask_b32_e32 v37, 0, v37, vcc
	v_add_u32_e32 v35, v35, v37
	v_cmp_lt_u32_e32 vcc, 3, v36
	s_nop 0
	v_mov_b32_dpp v37, v35 row_shr:4 row_mask:0xf bank_mask:0xf
	v_cndmask_b32_e32 v36, 0, v37, vcc
	v_add_u32_e32 v35, v35, v36
	ds_write_b32 v34, v35
.LBB53_85:
	s_or_b64 exec, exec, s[0:1]
	v_cmp_lt_u32_e32 vcc, 63, v0
	v_mov_b32_e32 v35, 0
	v_mov_b32_e32 v34, 0
	s_waitcnt lgkmcnt(0)
	s_barrier
	s_and_saveexec_b64 s[0:1], vcc
	s_cbranch_execz .LBB53_87
; %bb.86:
	v_lshl_add_u32 v34, v51, 2, -4
	ds_read_b32 v34, v34
.LBB53_87:
	s_or_b64 exec, exec, s[0:1]
	v_add_u32_e32 v36, -1, v50
	v_and_b32_e32 v37, 64, v50
	v_cmp_lt_i32_e32 vcc, v36, v37
	s_waitcnt lgkmcnt(0)
	v_add_u32_e32 v33, v34, v33
	ds_read_b32 v35, v35 offset:28
	v_cndmask_b32_e32 v36, v36, v50, vcc
	v_lshlrev_b32_e32 v36, 2, v36
	ds_bpermute_b32 v33, v36, v33
	s_waitcnt lgkmcnt(1)
	v_readfirstlane_b32 s33, v35
	s_and_saveexec_b64 s[0:1], s[18:19]
	s_cbranch_execz .LBB53_89
; %bb.88:
	v_mov_b32_e32 v35, 0
	v_mov_b32_e32 v36, s33
	;; [unrolled: 1-line block ×3, first 2 shown]
	global_store_dwordx2 v35, v[36:37], s[34:35] offset:512 sc1
.LBB53_89:
	s_or_b64 exec, exec, s[0:1]
	v_cmp_eq_u32_e32 vcc, 0, v50
	s_mov_b32 s16, 0
	s_waitcnt lgkmcnt(0)
	v_cndmask_b32_e32 v33, v33, v34, vcc
	v_cndmask_b32_e64 v46, v33, 0, s[18:19]
	v_add_u32_e32 v44, v46, v1
	v_add_u32_e32 v42, v44, v43
	;; [unrolled: 1-line block ×6, first 2 shown]
	s_barrier
.LBB53_90:
	s_cmpk_lt_u32 s33, 0x201
	s_cselect_b64 s[2:3], -1, 0
	v_lshrrev_b32_e32 v33, 8, v30
	v_lshrrev_b32_e32 v1, 8, v31
	s_mov_b64 s[0:1], -1
	s_and_b64 vcc, exec, s[2:3]
	s_cbranch_vccz .LBB53_113
; %bb.91:
	s_add_i32 s4, s16, s33
	v_cmp_gt_u32_e32 vcc, s4, v46
	s_or_b64 s[6:7], s[30:31], vcc
	s_and_saveexec_b64 s[0:1], s[6:7]
	s_cbranch_execz .LBB53_94
; %bb.92:
	v_and_b32_e32 v35, 1, v30
	v_cmp_eq_u32_e32 vcc, 1, v35
	s_and_b64 exec, exec, vcc
	s_cbranch_execz .LBB53_94
; %bb.93:
	s_lshl_b64 s[6:7], s[22:23], 3
	s_add_u32 s6, s24, s6
	s_addc_u32 s7, s25, s7
	v_mov_b32_e32 v47, 0
	v_lshl_add_u64 v[48:49], v[46:47], 3, s[6:7]
	global_store_dwordx2 v[48:49], v[22:23], off
.LBB53_94:
	s_or_b64 exec, exec, s[0:1]
	v_cmp_gt_u32_e32 vcc, s4, v44
	s_or_b64 s[6:7], s[30:31], vcc
	s_and_saveexec_b64 s[0:1], s[6:7]
	s_cbranch_execz .LBB53_97
; %bb.95:
	v_and_b32_e32 v35, 1, v33
	v_cmp_eq_u32_e32 vcc, 1, v35
	s_and_b64 exec, exec, vcc
	s_cbranch_execz .LBB53_97
; %bb.96:
	s_lshl_b64 s[6:7], s[22:23], 3
	s_add_u32 s6, s24, s6
	s_addc_u32 s7, s25, s7
	v_mov_b32_e32 v45, 0
	v_lshl_add_u64 v[48:49], v[44:45], 3, s[6:7]
	global_store_dwordx2 v[48:49], v[24:25], off
.LBB53_97:
	s_or_b64 exec, exec, s[0:1]
	v_cmp_gt_u32_e32 vcc, s4, v42
	s_or_b64 s[6:7], s[30:31], vcc
	s_and_saveexec_b64 s[0:1], s[6:7]
	s_cbranch_execz .LBB53_100
; %bb.98:
	v_mov_b32_e32 v35, 1
	v_and_b32_sdwa v35, v35, v30 dst_sel:DWORD dst_unused:UNUSED_PAD src0_sel:DWORD src1_sel:WORD_1
	v_cmp_eq_u32_e32 vcc, 1, v35
	s_and_b64 exec, exec, vcc
	s_cbranch_execz .LBB53_100
; %bb.99:
	s_lshl_b64 s[6:7], s[22:23], 3
	s_add_u32 s6, s24, s6
	s_addc_u32 s7, s25, s7
	v_mov_b32_e32 v43, 0
	v_lshl_add_u64 v[48:49], v[42:43], 3, s[6:7]
	global_store_dwordx2 v[48:49], v[18:19], off
.LBB53_100:
	s_or_b64 exec, exec, s[0:1]
	v_cmp_gt_u32_e32 vcc, s4, v40
	s_or_b64 s[6:7], s[30:31], vcc
	s_and_saveexec_b64 s[0:1], s[6:7]
	s_cbranch_execz .LBB53_103
; %bb.101:
	v_and_b32_e32 v35, 1, v32
	v_cmp_eq_u32_e32 vcc, 1, v35
	s_and_b64 exec, exec, vcc
	s_cbranch_execz .LBB53_103
; %bb.102:
	s_lshl_b64 s[6:7], s[22:23], 3
	s_add_u32 s6, s24, s6
	s_addc_u32 s7, s25, s7
	v_mov_b32_e32 v41, 0
	v_lshl_add_u64 v[48:49], v[40:41], 3, s[6:7]
	global_store_dwordx2 v[48:49], v[20:21], off
.LBB53_103:
	s_or_b64 exec, exec, s[0:1]
	v_cmp_gt_u32_e32 vcc, s4, v38
	s_or_b64 s[6:7], s[30:31], vcc
	s_and_saveexec_b64 s[0:1], s[6:7]
	s_cbranch_execz .LBB53_106
; %bb.104:
	v_and_b32_e32 v35, 1, v31
	v_cmp_eq_u32_e32 vcc, 1, v35
	s_and_b64 exec, exec, vcc
	s_cbranch_execz .LBB53_106
; %bb.105:
	s_lshl_b64 s[6:7], s[22:23], 3
	s_add_u32 s6, s24, s6
	s_addc_u32 s7, s25, s7
	v_mov_b32_e32 v39, 0
	v_lshl_add_u64 v[48:49], v[38:39], 3, s[6:7]
	global_store_dwordx2 v[48:49], v[14:15], off
.LBB53_106:
	s_or_b64 exec, exec, s[0:1]
	v_cmp_gt_u32_e32 vcc, s4, v36
	s_or_b64 s[6:7], s[30:31], vcc
	s_and_saveexec_b64 s[0:1], s[6:7]
	s_cbranch_execz .LBB53_109
; %bb.107:
	v_and_b32_e32 v35, 1, v1
	v_cmp_eq_u32_e32 vcc, 1, v35
	s_and_b64 exec, exec, vcc
	s_cbranch_execz .LBB53_109
; %bb.108:
	s_lshl_b64 s[6:7], s[22:23], 3
	s_add_u32 s6, s24, s6
	s_addc_u32 s7, s25, s7
	v_mov_b32_e32 v37, 0
	v_lshl_add_u64 v[48:49], v[36:37], 3, s[6:7]
	global_store_dwordx2 v[48:49], v[16:17], off
.LBB53_109:
	s_or_b64 exec, exec, s[0:1]
	v_cmp_gt_u32_e32 vcc, s4, v34
	s_or_b64 s[4:5], s[30:31], vcc
	s_and_saveexec_b64 s[0:1], s[4:5]
	s_cbranch_execz .LBB53_112
; %bb.110:
	v_mov_b32_e32 v35, 1
	v_and_b32_sdwa v35, v35, v31 dst_sel:DWORD dst_unused:UNUSED_PAD src0_sel:DWORD src1_sel:WORD_1
	v_cmp_eq_u32_e32 vcc, 1, v35
	s_and_b64 exec, exec, vcc
	s_cbranch_execz .LBB53_112
; %bb.111:
	s_lshl_b64 s[4:5], s[22:23], 3
	s_add_u32 s4, s24, s4
	s_addc_u32 s5, s25, s5
	v_mov_b32_e32 v35, 0
	v_lshl_add_u64 v[48:49], v[34:35], 3, s[4:5]
	global_store_dwordx2 v[48:49], v[28:29], off
.LBB53_112:
	s_or_b64 exec, exec, s[0:1]
	s_mov_b64 s[0:1], 0
.LBB53_113:
	v_and_b32_e32 v48, 1, v30
	s_and_b64 vcc, exec, s[0:1]
	v_cmp_eq_u32_e64 s[0:1], 1, v48
	s_cbranch_vccz .LBB53_132
; %bb.114:
	s_and_saveexec_b64 s[4:5], s[0:1]
	s_cbranch_execz .LBB53_116
; %bb.115:
	v_subrev_u32_e32 v35, s16, v46
	v_lshlrev_b32_e32 v35, 3, v35
	ds_write_b64 v35, v[22:23]
.LBB53_116:
	s_or_b64 exec, exec, s[4:5]
	v_and_b32_e32 v22, 1, v33
	v_cmp_eq_u32_e32 vcc, 1, v22
	s_and_saveexec_b64 s[0:1], vcc
	s_cbranch_execz .LBB53_118
; %bb.117:
	v_subrev_u32_e32 v22, s16, v44
	v_lshlrev_b32_e32 v22, 3, v22
	ds_write_b64 v22, v[24:25]
.LBB53_118:
	s_or_b64 exec, exec, s[0:1]
	v_mov_b32_e32 v22, 1
	v_and_b32_sdwa v22, v22, v30 dst_sel:DWORD dst_unused:UNUSED_PAD src0_sel:DWORD src1_sel:WORD_1
	v_cmp_eq_u32_e32 vcc, 1, v22
	s_and_saveexec_b64 s[0:1], vcc
	s_cbranch_execz .LBB53_120
; %bb.119:
	v_subrev_u32_e32 v22, s16, v42
	v_lshlrev_b32_e32 v22, 3, v22
	ds_write_b64 v22, v[18:19]
.LBB53_120:
	s_or_b64 exec, exec, s[0:1]
	v_and_b32_e32 v18, 1, v32
	v_cmp_eq_u32_e32 vcc, 1, v18
	s_and_saveexec_b64 s[0:1], vcc
	s_cbranch_execz .LBB53_122
; %bb.121:
	v_subrev_u32_e32 v18, s16, v40
	v_lshlrev_b32_e32 v18, 3, v18
	ds_write_b64 v18, v[20:21]
.LBB53_122:
	s_or_b64 exec, exec, s[0:1]
	v_and_b32_e32 v18, 1, v31
	;; [unrolled: 10-line block ×3, first 2 shown]
	v_cmp_eq_u32_e32 vcc, 1, v14
	s_and_saveexec_b64 s[0:1], vcc
	s_cbranch_execz .LBB53_126
; %bb.125:
	v_subrev_u32_e32 v14, s16, v36
	v_lshlrev_b32_e32 v14, 3, v14
	ds_write_b64 v14, v[16:17]
.LBB53_126:
	s_or_b64 exec, exec, s[0:1]
	v_mov_b32_e32 v14, 1
	v_and_b32_sdwa v14, v14, v31 dst_sel:DWORD dst_unused:UNUSED_PAD src0_sel:DWORD src1_sel:WORD_1
	v_cmp_eq_u32_e32 vcc, 1, v14
	s_and_saveexec_b64 s[0:1], vcc
	s_cbranch_execz .LBB53_128
; %bb.127:
	v_subrev_u32_e32 v14, s16, v34
	v_lshlrev_b32_e32 v14, 3, v14
	ds_write_b64 v14, v[28:29]
.LBB53_128:
	s_or_b64 exec, exec, s[0:1]
	v_cmp_gt_u32_e32 vcc, s33, v0
	s_waitcnt lgkmcnt(0)
	s_barrier
	s_and_saveexec_b64 s[0:1], vcc
	s_cbranch_execz .LBB53_131
; %bb.129:
	s_mov_b32 s17, 0
	s_lshl_b64 s[4:5], s[22:23], 3
	s_lshl_b64 s[6:7], s[16:17], 3
	s_add_u32 s4, s4, s6
	s_addc_u32 s5, s5, s7
	s_add_u32 s4, s24, s4
	v_lshlrev_b32_e32 v14, 3, v0
	v_mov_b32_e32 v15, 0
	s_addc_u32 s5, s25, s5
	v_lshl_add_u64 v[16:17], s[4:5], 0, v[14:15]
	s_mov_b64 s[4:5], 0
	s_mov_b64 s[6:7], 0x1000
	v_mov_b32_e32 v15, v0
.LBB53_130:                             ; =>This Inner Loop Header: Depth=1
	ds_read_b64 v[18:19], v14
	v_add_u32_e32 v15, 0x200, v15
	v_cmp_le_u32_e32 vcc, s33, v15
	v_add_u32_e32 v14, 0x1000, v14
	s_or_b64 s[4:5], vcc, s[4:5]
	s_waitcnt lgkmcnt(0)
	global_store_dwordx2 v[16:17], v[18:19], off
	v_lshl_add_u64 v[16:17], v[16:17], 0, s[6:7]
	s_andn2_b64 exec, exec, s[4:5]
	s_cbranch_execnz .LBB53_130
.LBB53_131:
	s_or_b64 exec, exec, s[0:1]
.LBB53_132:
	s_mov_b64 s[0:1], -1
	s_and_b64 vcc, exec, s[2:3]
	s_barrier
	s_cbranch_vccnz .LBB53_136
; %bb.133:
	s_and_b64 vcc, exec, s[0:1]
	s_cbranch_vccnz .LBB53_158
.LBB53_134:
	s_and_b64 s[0:1], s[18:19], s[28:29]
	s_and_saveexec_b64 s[2:3], s[0:1]
	s_cbranch_execnz .LBB53_176
.LBB53_135:
	s_endpgm
.LBB53_136:
	s_add_i32 s2, s16, s33
	v_cmp_gt_u32_e32 vcc, s2, v46
	s_or_b64 s[4:5], s[30:31], vcc
	s_and_saveexec_b64 s[0:1], s[4:5]
	s_cbranch_execz .LBB53_139
; %bb.137:
	v_cmp_eq_u32_e32 vcc, 1, v48
	s_and_b64 exec, exec, vcc
	s_cbranch_execz .LBB53_139
; %bb.138:
	s_lshl_b64 s[4:5], s[22:23], 3
	s_add_u32 s4, s26, s4
	s_addc_u32 s5, s27, s5
	v_mov_b32_e32 v47, 0
	v_lshl_add_u64 v[14:15], v[46:47], 3, s[4:5]
	global_store_dwordx2 v[14:15], v[10:11], off
.LBB53_139:
	s_or_b64 exec, exec, s[0:1]
	v_cmp_gt_u32_e32 vcc, s2, v44
	s_or_b64 s[4:5], s[30:31], vcc
	s_and_saveexec_b64 s[0:1], s[4:5]
	s_cbranch_execz .LBB53_142
; %bb.140:
	v_and_b32_e32 v14, 1, v33
	v_cmp_eq_u32_e32 vcc, 1, v14
	s_and_b64 exec, exec, vcc
	s_cbranch_execz .LBB53_142
; %bb.141:
	s_lshl_b64 s[4:5], s[22:23], 3
	s_add_u32 s4, s26, s4
	s_addc_u32 s5, s27, s5
	v_mov_b32_e32 v45, 0
	v_lshl_add_u64 v[14:15], v[44:45], 3, s[4:5]
	global_store_dwordx2 v[14:15], v[12:13], off
.LBB53_142:
	s_or_b64 exec, exec, s[0:1]
	v_cmp_gt_u32_e32 vcc, s2, v42
	s_or_b64 s[4:5], s[30:31], vcc
	s_and_saveexec_b64 s[0:1], s[4:5]
	s_cbranch_execz .LBB53_145
; %bb.143:
	v_mov_b32_e32 v14, 1
	v_and_b32_sdwa v14, v14, v30 dst_sel:DWORD dst_unused:UNUSED_PAD src0_sel:DWORD src1_sel:WORD_1
	v_cmp_eq_u32_e32 vcc, 1, v14
	s_and_b64 exec, exec, vcc
	s_cbranch_execz .LBB53_145
; %bb.144:
	s_lshl_b64 s[4:5], s[22:23], 3
	s_add_u32 s4, s26, s4
	s_addc_u32 s5, s27, s5
	v_mov_b32_e32 v43, 0
	v_lshl_add_u64 v[14:15], v[42:43], 3, s[4:5]
	global_store_dwordx2 v[14:15], v[6:7], off
.LBB53_145:
	s_or_b64 exec, exec, s[0:1]
	v_cmp_gt_u32_e32 vcc, s2, v40
	s_or_b64 s[4:5], s[30:31], vcc
	s_and_saveexec_b64 s[0:1], s[4:5]
	s_cbranch_execz .LBB53_148
; %bb.146:
	v_and_b32_e32 v14, 1, v32
	v_cmp_eq_u32_e32 vcc, 1, v14
	s_and_b64 exec, exec, vcc
	s_cbranch_execz .LBB53_148
; %bb.147:
	s_lshl_b64 s[4:5], s[22:23], 3
	s_add_u32 s4, s26, s4
	s_addc_u32 s5, s27, s5
	v_mov_b32_e32 v41, 0
	v_lshl_add_u64 v[14:15], v[40:41], 3, s[4:5]
	global_store_dwordx2 v[14:15], v[8:9], off
.LBB53_148:
	s_or_b64 exec, exec, s[0:1]
	v_cmp_gt_u32_e32 vcc, s2, v38
	s_or_b64 s[4:5], s[30:31], vcc
	s_and_saveexec_b64 s[0:1], s[4:5]
	s_cbranch_execz .LBB53_151
; %bb.149:
	v_and_b32_e32 v14, 1, v31
	v_cmp_eq_u32_e32 vcc, 1, v14
	s_and_b64 exec, exec, vcc
	s_cbranch_execz .LBB53_151
; %bb.150:
	s_lshl_b64 s[4:5], s[22:23], 3
	s_add_u32 s4, s26, s4
	s_addc_u32 s5, s27, s5
	v_mov_b32_e32 v39, 0
	v_lshl_add_u64 v[14:15], v[38:39], 3, s[4:5]
	global_store_dwordx2 v[14:15], v[2:3], off
.LBB53_151:
	;; [unrolled: 18-line block ×3, first 2 shown]
	s_or_b64 exec, exec, s[0:1]
	v_cmp_gt_u32_e32 vcc, s2, v34
	s_or_b64 s[2:3], s[30:31], vcc
	s_and_saveexec_b64 s[0:1], s[2:3]
	s_cbranch_execz .LBB53_157
; %bb.155:
	v_mov_b32_e32 v14, 1
	v_and_b32_sdwa v14, v14, v31 dst_sel:DWORD dst_unused:UNUSED_PAD src0_sel:DWORD src1_sel:WORD_1
	v_cmp_eq_u32_e32 vcc, 1, v14
	s_and_b64 exec, exec, vcc
	s_cbranch_execz .LBB53_157
; %bb.156:
	s_lshl_b64 s[2:3], s[22:23], 3
	s_add_u32 s2, s26, s2
	s_addc_u32 s3, s27, s3
	v_mov_b32_e32 v35, 0
	v_lshl_add_u64 v[14:15], v[34:35], 3, s[2:3]
	global_store_dwordx2 v[14:15], v[26:27], off
.LBB53_157:
	s_or_b64 exec, exec, s[0:1]
	s_branch .LBB53_134
.LBB53_158:
	v_cmp_eq_u32_e32 vcc, 1, v48
	s_and_saveexec_b64 s[0:1], vcc
	s_cbranch_execz .LBB53_160
; %bb.159:
	v_subrev_u32_e32 v14, s16, v46
	v_lshlrev_b32_e32 v14, 3, v14
	ds_write_b64 v14, v[10:11]
.LBB53_160:
	s_or_b64 exec, exec, s[0:1]
	v_and_b32_e32 v10, 1, v33
	v_cmp_eq_u32_e32 vcc, 1, v10
	s_and_saveexec_b64 s[0:1], vcc
	s_cbranch_execz .LBB53_162
; %bb.161:
	v_subrev_u32_e32 v10, s16, v44
	v_lshlrev_b32_e32 v10, 3, v10
	ds_write_b64 v10, v[12:13]
.LBB53_162:
	s_or_b64 exec, exec, s[0:1]
	v_mov_b32_e32 v10, 1
	v_and_b32_sdwa v10, v10, v30 dst_sel:DWORD dst_unused:UNUSED_PAD src0_sel:DWORD src1_sel:WORD_1
	v_cmp_eq_u32_e32 vcc, 1, v10
	s_and_saveexec_b64 s[0:1], vcc
	s_cbranch_execz .LBB53_164
; %bb.163:
	v_subrev_u32_e32 v10, s16, v42
	v_lshlrev_b32_e32 v10, 3, v10
	ds_write_b64 v10, v[6:7]
.LBB53_164:
	s_or_b64 exec, exec, s[0:1]
	v_and_b32_e32 v6, 1, v32
	v_cmp_eq_u32_e32 vcc, 1, v6
	s_and_saveexec_b64 s[0:1], vcc
	s_cbranch_execz .LBB53_166
; %bb.165:
	v_subrev_u32_e32 v6, s16, v40
	v_lshlrev_b32_e32 v6, 3, v6
	ds_write_b64 v6, v[8:9]
.LBB53_166:
	s_or_b64 exec, exec, s[0:1]
	v_and_b32_e32 v6, 1, v31
	v_cmp_eq_u32_e32 vcc, 1, v6
	s_and_saveexec_b64 s[0:1], vcc
	s_cbranch_execz .LBB53_168
; %bb.167:
	v_subrev_u32_e32 v6, s16, v38
	v_lshlrev_b32_e32 v6, 3, v6
	ds_write_b64 v6, v[2:3]
.LBB53_168:
	s_or_b64 exec, exec, s[0:1]
	v_and_b32_e32 v1, 1, v1
	v_cmp_eq_u32_e32 vcc, 1, v1
	s_and_saveexec_b64 s[0:1], vcc
	s_cbranch_execz .LBB53_170
; %bb.169:
	v_subrev_u32_e32 v1, s16, v36
	v_lshlrev_b32_e32 v1, 3, v1
	ds_write_b64 v1, v[4:5]
.LBB53_170:
	s_or_b64 exec, exec, s[0:1]
	v_mov_b32_e32 v1, 1
	v_and_b32_sdwa v1, v1, v31 dst_sel:DWORD dst_unused:UNUSED_PAD src0_sel:DWORD src1_sel:WORD_1
	v_cmp_eq_u32_e32 vcc, 1, v1
	s_and_saveexec_b64 s[0:1], vcc
	s_cbranch_execz .LBB53_172
; %bb.171:
	v_subrev_u32_e32 v1, s16, v34
	v_lshlrev_b32_e32 v1, 3, v1
	ds_write_b64 v1, v[26:27]
.LBB53_172:
	s_or_b64 exec, exec, s[0:1]
	v_cmp_gt_u32_e32 vcc, s33, v0
	s_waitcnt lgkmcnt(0)
	s_barrier
	s_and_saveexec_b64 s[0:1], vcc
	s_cbranch_execz .LBB53_175
; %bb.173:
	s_mov_b32 s17, 0
	s_lshl_b64 s[2:3], s[22:23], 3
	s_lshl_b64 s[4:5], s[16:17], 3
	s_add_u32 s2, s2, s4
	s_addc_u32 s3, s3, s5
	s_add_u32 s2, s26, s2
	v_lshlrev_b32_e32 v2, 3, v0
	v_mov_b32_e32 v3, 0
	s_addc_u32 s3, s27, s3
	v_lshl_add_u64 v[4:5], s[2:3], 0, v[2:3]
	s_mov_b64 s[2:3], 0
	s_mov_b64 s[4:5], 0x1000
.LBB53_174:                             ; =>This Inner Loop Header: Depth=1
	ds_read_b64 v[6:7], v2
	v_add_u32_e32 v0, 0x200, v0
	v_cmp_le_u32_e32 vcc, s33, v0
	v_add_u32_e32 v2, 0x1000, v2
	s_or_b64 s[2:3], vcc, s[2:3]
	s_waitcnt lgkmcnt(0)
	global_store_dwordx2 v[4:5], v[6:7], off
	v_lshl_add_u64 v[4:5], v[4:5], 0, s[4:5]
	s_andn2_b64 exec, exec, s[2:3]
	s_cbranch_execnz .LBB53_174
.LBB53_175:
	s_or_b64 exec, exec, s[0:1]
	s_and_b64 s[0:1], s[18:19], s[28:29]
	s_and_saveexec_b64 s[2:3], s[0:1]
	s_cbranch_execz .LBB53_135
.LBB53_176:
	s_add_u32 s0, s22, s33
	s_addc_u32 s1, s23, 0
	s_add_u32 s0, s0, s16
	s_addc_u32 s1, s1, 0
	v_mov_b32_e32 v2, 0
	v_mov_b64_e32 v[0:1], s[0:1]
	global_store_dwordx2 v2, v[0:1], s[20:21]
	s_endpgm
.LBB53_177:
	s_or_b64 exec, exec, s[4:5]
	s_and_saveexec_b64 s[2:3], s[36:37]
	s_cbranch_execnz .LBB53_46
	s_branch .LBB53_47
	.section	.rodata,"a",@progbits
	.p2align	6, 0x0
	.amdhsa_kernel _ZN7rocprim17ROCPRIM_400000_NS6detail17trampoline_kernelINS0_14default_configENS1_25partition_config_selectorILNS1_17partition_subalgoE9EllbEEZZNS1_14partition_implILS5_9ELb0ES3_jPKlN6thrust23THRUST_200600_302600_NS17counting_iteratorIlNSB_11use_defaultESD_SD_EEPNS0_10empty_typeENS0_5tupleIJPlSF_EEENSH_IJSI_SG_EEENS0_18inequality_wrapperIN6hipcub16HIPCUB_304000_NS8EqualityEEESI_JSF_EEE10hipError_tPvRmT3_T4_T5_T6_T7_T9_mT8_P12ihipStream_tbDpT10_ENKUlT_T0_E_clISt17integral_constantIbLb1EES19_EEDaS14_S15_EUlS14_E_NS1_11comp_targetILNS1_3genE5ELNS1_11target_archE942ELNS1_3gpuE9ELNS1_3repE0EEENS1_30default_config_static_selectorELNS0_4arch9wavefront6targetE1EEEvT1_
		.amdhsa_group_segment_fixed_size 28680
		.amdhsa_private_segment_fixed_size 0
		.amdhsa_kernarg_size 128
		.amdhsa_user_sgpr_count 2
		.amdhsa_user_sgpr_dispatch_ptr 0
		.amdhsa_user_sgpr_queue_ptr 0
		.amdhsa_user_sgpr_kernarg_segment_ptr 1
		.amdhsa_user_sgpr_dispatch_id 0
		.amdhsa_user_sgpr_kernarg_preload_length 0
		.amdhsa_user_sgpr_kernarg_preload_offset 0
		.amdhsa_user_sgpr_private_segment_size 0
		.amdhsa_uses_dynamic_stack 0
		.amdhsa_enable_private_segment 0
		.amdhsa_system_sgpr_workgroup_id_x 1
		.amdhsa_system_sgpr_workgroup_id_y 0
		.amdhsa_system_sgpr_workgroup_id_z 0
		.amdhsa_system_sgpr_workgroup_info 0
		.amdhsa_system_vgpr_workitem_id 0
		.amdhsa_next_free_vgpr 66
		.amdhsa_next_free_sgpr 44
		.amdhsa_accum_offset 68
		.amdhsa_reserve_vcc 1
		.amdhsa_float_round_mode_32 0
		.amdhsa_float_round_mode_16_64 0
		.amdhsa_float_denorm_mode_32 3
		.amdhsa_float_denorm_mode_16_64 3
		.amdhsa_dx10_clamp 1
		.amdhsa_ieee_mode 1
		.amdhsa_fp16_overflow 0
		.amdhsa_tg_split 0
		.amdhsa_exception_fp_ieee_invalid_op 0
		.amdhsa_exception_fp_denorm_src 0
		.amdhsa_exception_fp_ieee_div_zero 0
		.amdhsa_exception_fp_ieee_overflow 0
		.amdhsa_exception_fp_ieee_underflow 0
		.amdhsa_exception_fp_ieee_inexact 0
		.amdhsa_exception_int_div_zero 0
	.end_amdhsa_kernel
	.section	.text._ZN7rocprim17ROCPRIM_400000_NS6detail17trampoline_kernelINS0_14default_configENS1_25partition_config_selectorILNS1_17partition_subalgoE9EllbEEZZNS1_14partition_implILS5_9ELb0ES3_jPKlN6thrust23THRUST_200600_302600_NS17counting_iteratorIlNSB_11use_defaultESD_SD_EEPNS0_10empty_typeENS0_5tupleIJPlSF_EEENSH_IJSI_SG_EEENS0_18inequality_wrapperIN6hipcub16HIPCUB_304000_NS8EqualityEEESI_JSF_EEE10hipError_tPvRmT3_T4_T5_T6_T7_T9_mT8_P12ihipStream_tbDpT10_ENKUlT_T0_E_clISt17integral_constantIbLb1EES19_EEDaS14_S15_EUlS14_E_NS1_11comp_targetILNS1_3genE5ELNS1_11target_archE942ELNS1_3gpuE9ELNS1_3repE0EEENS1_30default_config_static_selectorELNS0_4arch9wavefront6targetE1EEEvT1_,"axG",@progbits,_ZN7rocprim17ROCPRIM_400000_NS6detail17trampoline_kernelINS0_14default_configENS1_25partition_config_selectorILNS1_17partition_subalgoE9EllbEEZZNS1_14partition_implILS5_9ELb0ES3_jPKlN6thrust23THRUST_200600_302600_NS17counting_iteratorIlNSB_11use_defaultESD_SD_EEPNS0_10empty_typeENS0_5tupleIJPlSF_EEENSH_IJSI_SG_EEENS0_18inequality_wrapperIN6hipcub16HIPCUB_304000_NS8EqualityEEESI_JSF_EEE10hipError_tPvRmT3_T4_T5_T6_T7_T9_mT8_P12ihipStream_tbDpT10_ENKUlT_T0_E_clISt17integral_constantIbLb1EES19_EEDaS14_S15_EUlS14_E_NS1_11comp_targetILNS1_3genE5ELNS1_11target_archE942ELNS1_3gpuE9ELNS1_3repE0EEENS1_30default_config_static_selectorELNS0_4arch9wavefront6targetE1EEEvT1_,comdat
.Lfunc_end53:
	.size	_ZN7rocprim17ROCPRIM_400000_NS6detail17trampoline_kernelINS0_14default_configENS1_25partition_config_selectorILNS1_17partition_subalgoE9EllbEEZZNS1_14partition_implILS5_9ELb0ES3_jPKlN6thrust23THRUST_200600_302600_NS17counting_iteratorIlNSB_11use_defaultESD_SD_EEPNS0_10empty_typeENS0_5tupleIJPlSF_EEENSH_IJSI_SG_EEENS0_18inequality_wrapperIN6hipcub16HIPCUB_304000_NS8EqualityEEESI_JSF_EEE10hipError_tPvRmT3_T4_T5_T6_T7_T9_mT8_P12ihipStream_tbDpT10_ENKUlT_T0_E_clISt17integral_constantIbLb1EES19_EEDaS14_S15_EUlS14_E_NS1_11comp_targetILNS1_3genE5ELNS1_11target_archE942ELNS1_3gpuE9ELNS1_3repE0EEENS1_30default_config_static_selectorELNS0_4arch9wavefront6targetE1EEEvT1_, .Lfunc_end53-_ZN7rocprim17ROCPRIM_400000_NS6detail17trampoline_kernelINS0_14default_configENS1_25partition_config_selectorILNS1_17partition_subalgoE9EllbEEZZNS1_14partition_implILS5_9ELb0ES3_jPKlN6thrust23THRUST_200600_302600_NS17counting_iteratorIlNSB_11use_defaultESD_SD_EEPNS0_10empty_typeENS0_5tupleIJPlSF_EEENSH_IJSI_SG_EEENS0_18inequality_wrapperIN6hipcub16HIPCUB_304000_NS8EqualityEEESI_JSF_EEE10hipError_tPvRmT3_T4_T5_T6_T7_T9_mT8_P12ihipStream_tbDpT10_ENKUlT_T0_E_clISt17integral_constantIbLb1EES19_EEDaS14_S15_EUlS14_E_NS1_11comp_targetILNS1_3genE5ELNS1_11target_archE942ELNS1_3gpuE9ELNS1_3repE0EEENS1_30default_config_static_selectorELNS0_4arch9wavefront6targetE1EEEvT1_
                                        ; -- End function
	.section	.AMDGPU.csdata,"",@progbits
; Kernel info:
; codeLenInByte = 6916
; NumSgprs: 50
; NumVgprs: 66
; NumAgprs: 0
; TotalNumVgprs: 66
; ScratchSize: 0
; MemoryBound: 0
; FloatMode: 240
; IeeeMode: 1
; LDSByteSize: 28680 bytes/workgroup (compile time only)
; SGPRBlocks: 6
; VGPRBlocks: 8
; NumSGPRsForWavesPerEU: 50
; NumVGPRsForWavesPerEU: 66
; AccumOffset: 68
; Occupancy: 4
; WaveLimiterHint : 1
; COMPUTE_PGM_RSRC2:SCRATCH_EN: 0
; COMPUTE_PGM_RSRC2:USER_SGPR: 2
; COMPUTE_PGM_RSRC2:TRAP_HANDLER: 0
; COMPUTE_PGM_RSRC2:TGID_X_EN: 1
; COMPUTE_PGM_RSRC2:TGID_Y_EN: 0
; COMPUTE_PGM_RSRC2:TGID_Z_EN: 0
; COMPUTE_PGM_RSRC2:TIDIG_COMP_CNT: 0
; COMPUTE_PGM_RSRC3_GFX90A:ACCUM_OFFSET: 16
; COMPUTE_PGM_RSRC3_GFX90A:TG_SPLIT: 0
	.section	.text._ZN7rocprim17ROCPRIM_400000_NS6detail17trampoline_kernelINS0_14default_configENS1_25partition_config_selectorILNS1_17partition_subalgoE9EllbEEZZNS1_14partition_implILS5_9ELb0ES3_jPKlN6thrust23THRUST_200600_302600_NS17counting_iteratorIlNSB_11use_defaultESD_SD_EEPNS0_10empty_typeENS0_5tupleIJPlSF_EEENSH_IJSI_SG_EEENS0_18inequality_wrapperIN6hipcub16HIPCUB_304000_NS8EqualityEEESI_JSF_EEE10hipError_tPvRmT3_T4_T5_T6_T7_T9_mT8_P12ihipStream_tbDpT10_ENKUlT_T0_E_clISt17integral_constantIbLb1EES19_EEDaS14_S15_EUlS14_E_NS1_11comp_targetILNS1_3genE4ELNS1_11target_archE910ELNS1_3gpuE8ELNS1_3repE0EEENS1_30default_config_static_selectorELNS0_4arch9wavefront6targetE1EEEvT1_,"axG",@progbits,_ZN7rocprim17ROCPRIM_400000_NS6detail17trampoline_kernelINS0_14default_configENS1_25partition_config_selectorILNS1_17partition_subalgoE9EllbEEZZNS1_14partition_implILS5_9ELb0ES3_jPKlN6thrust23THRUST_200600_302600_NS17counting_iteratorIlNSB_11use_defaultESD_SD_EEPNS0_10empty_typeENS0_5tupleIJPlSF_EEENSH_IJSI_SG_EEENS0_18inequality_wrapperIN6hipcub16HIPCUB_304000_NS8EqualityEEESI_JSF_EEE10hipError_tPvRmT3_T4_T5_T6_T7_T9_mT8_P12ihipStream_tbDpT10_ENKUlT_T0_E_clISt17integral_constantIbLb1EES19_EEDaS14_S15_EUlS14_E_NS1_11comp_targetILNS1_3genE4ELNS1_11target_archE910ELNS1_3gpuE8ELNS1_3repE0EEENS1_30default_config_static_selectorELNS0_4arch9wavefront6targetE1EEEvT1_,comdat
	.protected	_ZN7rocprim17ROCPRIM_400000_NS6detail17trampoline_kernelINS0_14default_configENS1_25partition_config_selectorILNS1_17partition_subalgoE9EllbEEZZNS1_14partition_implILS5_9ELb0ES3_jPKlN6thrust23THRUST_200600_302600_NS17counting_iteratorIlNSB_11use_defaultESD_SD_EEPNS0_10empty_typeENS0_5tupleIJPlSF_EEENSH_IJSI_SG_EEENS0_18inequality_wrapperIN6hipcub16HIPCUB_304000_NS8EqualityEEESI_JSF_EEE10hipError_tPvRmT3_T4_T5_T6_T7_T9_mT8_P12ihipStream_tbDpT10_ENKUlT_T0_E_clISt17integral_constantIbLb1EES19_EEDaS14_S15_EUlS14_E_NS1_11comp_targetILNS1_3genE4ELNS1_11target_archE910ELNS1_3gpuE8ELNS1_3repE0EEENS1_30default_config_static_selectorELNS0_4arch9wavefront6targetE1EEEvT1_ ; -- Begin function _ZN7rocprim17ROCPRIM_400000_NS6detail17trampoline_kernelINS0_14default_configENS1_25partition_config_selectorILNS1_17partition_subalgoE9EllbEEZZNS1_14partition_implILS5_9ELb0ES3_jPKlN6thrust23THRUST_200600_302600_NS17counting_iteratorIlNSB_11use_defaultESD_SD_EEPNS0_10empty_typeENS0_5tupleIJPlSF_EEENSH_IJSI_SG_EEENS0_18inequality_wrapperIN6hipcub16HIPCUB_304000_NS8EqualityEEESI_JSF_EEE10hipError_tPvRmT3_T4_T5_T6_T7_T9_mT8_P12ihipStream_tbDpT10_ENKUlT_T0_E_clISt17integral_constantIbLb1EES19_EEDaS14_S15_EUlS14_E_NS1_11comp_targetILNS1_3genE4ELNS1_11target_archE910ELNS1_3gpuE8ELNS1_3repE0EEENS1_30default_config_static_selectorELNS0_4arch9wavefront6targetE1EEEvT1_
	.globl	_ZN7rocprim17ROCPRIM_400000_NS6detail17trampoline_kernelINS0_14default_configENS1_25partition_config_selectorILNS1_17partition_subalgoE9EllbEEZZNS1_14partition_implILS5_9ELb0ES3_jPKlN6thrust23THRUST_200600_302600_NS17counting_iteratorIlNSB_11use_defaultESD_SD_EEPNS0_10empty_typeENS0_5tupleIJPlSF_EEENSH_IJSI_SG_EEENS0_18inequality_wrapperIN6hipcub16HIPCUB_304000_NS8EqualityEEESI_JSF_EEE10hipError_tPvRmT3_T4_T5_T6_T7_T9_mT8_P12ihipStream_tbDpT10_ENKUlT_T0_E_clISt17integral_constantIbLb1EES19_EEDaS14_S15_EUlS14_E_NS1_11comp_targetILNS1_3genE4ELNS1_11target_archE910ELNS1_3gpuE8ELNS1_3repE0EEENS1_30default_config_static_selectorELNS0_4arch9wavefront6targetE1EEEvT1_
	.p2align	8
	.type	_ZN7rocprim17ROCPRIM_400000_NS6detail17trampoline_kernelINS0_14default_configENS1_25partition_config_selectorILNS1_17partition_subalgoE9EllbEEZZNS1_14partition_implILS5_9ELb0ES3_jPKlN6thrust23THRUST_200600_302600_NS17counting_iteratorIlNSB_11use_defaultESD_SD_EEPNS0_10empty_typeENS0_5tupleIJPlSF_EEENSH_IJSI_SG_EEENS0_18inequality_wrapperIN6hipcub16HIPCUB_304000_NS8EqualityEEESI_JSF_EEE10hipError_tPvRmT3_T4_T5_T6_T7_T9_mT8_P12ihipStream_tbDpT10_ENKUlT_T0_E_clISt17integral_constantIbLb1EES19_EEDaS14_S15_EUlS14_E_NS1_11comp_targetILNS1_3genE4ELNS1_11target_archE910ELNS1_3gpuE8ELNS1_3repE0EEENS1_30default_config_static_selectorELNS0_4arch9wavefront6targetE1EEEvT1_,@function
_ZN7rocprim17ROCPRIM_400000_NS6detail17trampoline_kernelINS0_14default_configENS1_25partition_config_selectorILNS1_17partition_subalgoE9EllbEEZZNS1_14partition_implILS5_9ELb0ES3_jPKlN6thrust23THRUST_200600_302600_NS17counting_iteratorIlNSB_11use_defaultESD_SD_EEPNS0_10empty_typeENS0_5tupleIJPlSF_EEENSH_IJSI_SG_EEENS0_18inequality_wrapperIN6hipcub16HIPCUB_304000_NS8EqualityEEESI_JSF_EEE10hipError_tPvRmT3_T4_T5_T6_T7_T9_mT8_P12ihipStream_tbDpT10_ENKUlT_T0_E_clISt17integral_constantIbLb1EES19_EEDaS14_S15_EUlS14_E_NS1_11comp_targetILNS1_3genE4ELNS1_11target_archE910ELNS1_3gpuE8ELNS1_3repE0EEENS1_30default_config_static_selectorELNS0_4arch9wavefront6targetE1EEEvT1_: ; @_ZN7rocprim17ROCPRIM_400000_NS6detail17trampoline_kernelINS0_14default_configENS1_25partition_config_selectorILNS1_17partition_subalgoE9EllbEEZZNS1_14partition_implILS5_9ELb0ES3_jPKlN6thrust23THRUST_200600_302600_NS17counting_iteratorIlNSB_11use_defaultESD_SD_EEPNS0_10empty_typeENS0_5tupleIJPlSF_EEENSH_IJSI_SG_EEENS0_18inequality_wrapperIN6hipcub16HIPCUB_304000_NS8EqualityEEESI_JSF_EEE10hipError_tPvRmT3_T4_T5_T6_T7_T9_mT8_P12ihipStream_tbDpT10_ENKUlT_T0_E_clISt17integral_constantIbLb1EES19_EEDaS14_S15_EUlS14_E_NS1_11comp_targetILNS1_3genE4ELNS1_11target_archE910ELNS1_3gpuE8ELNS1_3repE0EEENS1_30default_config_static_selectorELNS0_4arch9wavefront6targetE1EEEvT1_
; %bb.0:
	.section	.rodata,"a",@progbits
	.p2align	6, 0x0
	.amdhsa_kernel _ZN7rocprim17ROCPRIM_400000_NS6detail17trampoline_kernelINS0_14default_configENS1_25partition_config_selectorILNS1_17partition_subalgoE9EllbEEZZNS1_14partition_implILS5_9ELb0ES3_jPKlN6thrust23THRUST_200600_302600_NS17counting_iteratorIlNSB_11use_defaultESD_SD_EEPNS0_10empty_typeENS0_5tupleIJPlSF_EEENSH_IJSI_SG_EEENS0_18inequality_wrapperIN6hipcub16HIPCUB_304000_NS8EqualityEEESI_JSF_EEE10hipError_tPvRmT3_T4_T5_T6_T7_T9_mT8_P12ihipStream_tbDpT10_ENKUlT_T0_E_clISt17integral_constantIbLb1EES19_EEDaS14_S15_EUlS14_E_NS1_11comp_targetILNS1_3genE4ELNS1_11target_archE910ELNS1_3gpuE8ELNS1_3repE0EEENS1_30default_config_static_selectorELNS0_4arch9wavefront6targetE1EEEvT1_
		.amdhsa_group_segment_fixed_size 0
		.amdhsa_private_segment_fixed_size 0
		.amdhsa_kernarg_size 128
		.amdhsa_user_sgpr_count 2
		.amdhsa_user_sgpr_dispatch_ptr 0
		.amdhsa_user_sgpr_queue_ptr 0
		.amdhsa_user_sgpr_kernarg_segment_ptr 1
		.amdhsa_user_sgpr_dispatch_id 0
		.amdhsa_user_sgpr_kernarg_preload_length 0
		.amdhsa_user_sgpr_kernarg_preload_offset 0
		.amdhsa_user_sgpr_private_segment_size 0
		.amdhsa_uses_dynamic_stack 0
		.amdhsa_enable_private_segment 0
		.amdhsa_system_sgpr_workgroup_id_x 1
		.amdhsa_system_sgpr_workgroup_id_y 0
		.amdhsa_system_sgpr_workgroup_id_z 0
		.amdhsa_system_sgpr_workgroup_info 0
		.amdhsa_system_vgpr_workitem_id 0
		.amdhsa_next_free_vgpr 1
		.amdhsa_next_free_sgpr 0
		.amdhsa_accum_offset 4
		.amdhsa_reserve_vcc 0
		.amdhsa_float_round_mode_32 0
		.amdhsa_float_round_mode_16_64 0
		.amdhsa_float_denorm_mode_32 3
		.amdhsa_float_denorm_mode_16_64 3
		.amdhsa_dx10_clamp 1
		.amdhsa_ieee_mode 1
		.amdhsa_fp16_overflow 0
		.amdhsa_tg_split 0
		.amdhsa_exception_fp_ieee_invalid_op 0
		.amdhsa_exception_fp_denorm_src 0
		.amdhsa_exception_fp_ieee_div_zero 0
		.amdhsa_exception_fp_ieee_overflow 0
		.amdhsa_exception_fp_ieee_underflow 0
		.amdhsa_exception_fp_ieee_inexact 0
		.amdhsa_exception_int_div_zero 0
	.end_amdhsa_kernel
	.section	.text._ZN7rocprim17ROCPRIM_400000_NS6detail17trampoline_kernelINS0_14default_configENS1_25partition_config_selectorILNS1_17partition_subalgoE9EllbEEZZNS1_14partition_implILS5_9ELb0ES3_jPKlN6thrust23THRUST_200600_302600_NS17counting_iteratorIlNSB_11use_defaultESD_SD_EEPNS0_10empty_typeENS0_5tupleIJPlSF_EEENSH_IJSI_SG_EEENS0_18inequality_wrapperIN6hipcub16HIPCUB_304000_NS8EqualityEEESI_JSF_EEE10hipError_tPvRmT3_T4_T5_T6_T7_T9_mT8_P12ihipStream_tbDpT10_ENKUlT_T0_E_clISt17integral_constantIbLb1EES19_EEDaS14_S15_EUlS14_E_NS1_11comp_targetILNS1_3genE4ELNS1_11target_archE910ELNS1_3gpuE8ELNS1_3repE0EEENS1_30default_config_static_selectorELNS0_4arch9wavefront6targetE1EEEvT1_,"axG",@progbits,_ZN7rocprim17ROCPRIM_400000_NS6detail17trampoline_kernelINS0_14default_configENS1_25partition_config_selectorILNS1_17partition_subalgoE9EllbEEZZNS1_14partition_implILS5_9ELb0ES3_jPKlN6thrust23THRUST_200600_302600_NS17counting_iteratorIlNSB_11use_defaultESD_SD_EEPNS0_10empty_typeENS0_5tupleIJPlSF_EEENSH_IJSI_SG_EEENS0_18inequality_wrapperIN6hipcub16HIPCUB_304000_NS8EqualityEEESI_JSF_EEE10hipError_tPvRmT3_T4_T5_T6_T7_T9_mT8_P12ihipStream_tbDpT10_ENKUlT_T0_E_clISt17integral_constantIbLb1EES19_EEDaS14_S15_EUlS14_E_NS1_11comp_targetILNS1_3genE4ELNS1_11target_archE910ELNS1_3gpuE8ELNS1_3repE0EEENS1_30default_config_static_selectorELNS0_4arch9wavefront6targetE1EEEvT1_,comdat
.Lfunc_end54:
	.size	_ZN7rocprim17ROCPRIM_400000_NS6detail17trampoline_kernelINS0_14default_configENS1_25partition_config_selectorILNS1_17partition_subalgoE9EllbEEZZNS1_14partition_implILS5_9ELb0ES3_jPKlN6thrust23THRUST_200600_302600_NS17counting_iteratorIlNSB_11use_defaultESD_SD_EEPNS0_10empty_typeENS0_5tupleIJPlSF_EEENSH_IJSI_SG_EEENS0_18inequality_wrapperIN6hipcub16HIPCUB_304000_NS8EqualityEEESI_JSF_EEE10hipError_tPvRmT3_T4_T5_T6_T7_T9_mT8_P12ihipStream_tbDpT10_ENKUlT_T0_E_clISt17integral_constantIbLb1EES19_EEDaS14_S15_EUlS14_E_NS1_11comp_targetILNS1_3genE4ELNS1_11target_archE910ELNS1_3gpuE8ELNS1_3repE0EEENS1_30default_config_static_selectorELNS0_4arch9wavefront6targetE1EEEvT1_, .Lfunc_end54-_ZN7rocprim17ROCPRIM_400000_NS6detail17trampoline_kernelINS0_14default_configENS1_25partition_config_selectorILNS1_17partition_subalgoE9EllbEEZZNS1_14partition_implILS5_9ELb0ES3_jPKlN6thrust23THRUST_200600_302600_NS17counting_iteratorIlNSB_11use_defaultESD_SD_EEPNS0_10empty_typeENS0_5tupleIJPlSF_EEENSH_IJSI_SG_EEENS0_18inequality_wrapperIN6hipcub16HIPCUB_304000_NS8EqualityEEESI_JSF_EEE10hipError_tPvRmT3_T4_T5_T6_T7_T9_mT8_P12ihipStream_tbDpT10_ENKUlT_T0_E_clISt17integral_constantIbLb1EES19_EEDaS14_S15_EUlS14_E_NS1_11comp_targetILNS1_3genE4ELNS1_11target_archE910ELNS1_3gpuE8ELNS1_3repE0EEENS1_30default_config_static_selectorELNS0_4arch9wavefront6targetE1EEEvT1_
                                        ; -- End function
	.section	.AMDGPU.csdata,"",@progbits
; Kernel info:
; codeLenInByte = 0
; NumSgprs: 6
; NumVgprs: 0
; NumAgprs: 0
; TotalNumVgprs: 0
; ScratchSize: 0
; MemoryBound: 0
; FloatMode: 240
; IeeeMode: 1
; LDSByteSize: 0 bytes/workgroup (compile time only)
; SGPRBlocks: 0
; VGPRBlocks: 0
; NumSGPRsForWavesPerEU: 6
; NumVGPRsForWavesPerEU: 1
; AccumOffset: 4
; Occupancy: 8
; WaveLimiterHint : 0
; COMPUTE_PGM_RSRC2:SCRATCH_EN: 0
; COMPUTE_PGM_RSRC2:USER_SGPR: 2
; COMPUTE_PGM_RSRC2:TRAP_HANDLER: 0
; COMPUTE_PGM_RSRC2:TGID_X_EN: 1
; COMPUTE_PGM_RSRC2:TGID_Y_EN: 0
; COMPUTE_PGM_RSRC2:TGID_Z_EN: 0
; COMPUTE_PGM_RSRC2:TIDIG_COMP_CNT: 0
; COMPUTE_PGM_RSRC3_GFX90A:ACCUM_OFFSET: 0
; COMPUTE_PGM_RSRC3_GFX90A:TG_SPLIT: 0
	.section	.text._ZN7rocprim17ROCPRIM_400000_NS6detail17trampoline_kernelINS0_14default_configENS1_25partition_config_selectorILNS1_17partition_subalgoE9EllbEEZZNS1_14partition_implILS5_9ELb0ES3_jPKlN6thrust23THRUST_200600_302600_NS17counting_iteratorIlNSB_11use_defaultESD_SD_EEPNS0_10empty_typeENS0_5tupleIJPlSF_EEENSH_IJSI_SG_EEENS0_18inequality_wrapperIN6hipcub16HIPCUB_304000_NS8EqualityEEESI_JSF_EEE10hipError_tPvRmT3_T4_T5_T6_T7_T9_mT8_P12ihipStream_tbDpT10_ENKUlT_T0_E_clISt17integral_constantIbLb1EES19_EEDaS14_S15_EUlS14_E_NS1_11comp_targetILNS1_3genE3ELNS1_11target_archE908ELNS1_3gpuE7ELNS1_3repE0EEENS1_30default_config_static_selectorELNS0_4arch9wavefront6targetE1EEEvT1_,"axG",@progbits,_ZN7rocprim17ROCPRIM_400000_NS6detail17trampoline_kernelINS0_14default_configENS1_25partition_config_selectorILNS1_17partition_subalgoE9EllbEEZZNS1_14partition_implILS5_9ELb0ES3_jPKlN6thrust23THRUST_200600_302600_NS17counting_iteratorIlNSB_11use_defaultESD_SD_EEPNS0_10empty_typeENS0_5tupleIJPlSF_EEENSH_IJSI_SG_EEENS0_18inequality_wrapperIN6hipcub16HIPCUB_304000_NS8EqualityEEESI_JSF_EEE10hipError_tPvRmT3_T4_T5_T6_T7_T9_mT8_P12ihipStream_tbDpT10_ENKUlT_T0_E_clISt17integral_constantIbLb1EES19_EEDaS14_S15_EUlS14_E_NS1_11comp_targetILNS1_3genE3ELNS1_11target_archE908ELNS1_3gpuE7ELNS1_3repE0EEENS1_30default_config_static_selectorELNS0_4arch9wavefront6targetE1EEEvT1_,comdat
	.protected	_ZN7rocprim17ROCPRIM_400000_NS6detail17trampoline_kernelINS0_14default_configENS1_25partition_config_selectorILNS1_17partition_subalgoE9EllbEEZZNS1_14partition_implILS5_9ELb0ES3_jPKlN6thrust23THRUST_200600_302600_NS17counting_iteratorIlNSB_11use_defaultESD_SD_EEPNS0_10empty_typeENS0_5tupleIJPlSF_EEENSH_IJSI_SG_EEENS0_18inequality_wrapperIN6hipcub16HIPCUB_304000_NS8EqualityEEESI_JSF_EEE10hipError_tPvRmT3_T4_T5_T6_T7_T9_mT8_P12ihipStream_tbDpT10_ENKUlT_T0_E_clISt17integral_constantIbLb1EES19_EEDaS14_S15_EUlS14_E_NS1_11comp_targetILNS1_3genE3ELNS1_11target_archE908ELNS1_3gpuE7ELNS1_3repE0EEENS1_30default_config_static_selectorELNS0_4arch9wavefront6targetE1EEEvT1_ ; -- Begin function _ZN7rocprim17ROCPRIM_400000_NS6detail17trampoline_kernelINS0_14default_configENS1_25partition_config_selectorILNS1_17partition_subalgoE9EllbEEZZNS1_14partition_implILS5_9ELb0ES3_jPKlN6thrust23THRUST_200600_302600_NS17counting_iteratorIlNSB_11use_defaultESD_SD_EEPNS0_10empty_typeENS0_5tupleIJPlSF_EEENSH_IJSI_SG_EEENS0_18inequality_wrapperIN6hipcub16HIPCUB_304000_NS8EqualityEEESI_JSF_EEE10hipError_tPvRmT3_T4_T5_T6_T7_T9_mT8_P12ihipStream_tbDpT10_ENKUlT_T0_E_clISt17integral_constantIbLb1EES19_EEDaS14_S15_EUlS14_E_NS1_11comp_targetILNS1_3genE3ELNS1_11target_archE908ELNS1_3gpuE7ELNS1_3repE0EEENS1_30default_config_static_selectorELNS0_4arch9wavefront6targetE1EEEvT1_
	.globl	_ZN7rocprim17ROCPRIM_400000_NS6detail17trampoline_kernelINS0_14default_configENS1_25partition_config_selectorILNS1_17partition_subalgoE9EllbEEZZNS1_14partition_implILS5_9ELb0ES3_jPKlN6thrust23THRUST_200600_302600_NS17counting_iteratorIlNSB_11use_defaultESD_SD_EEPNS0_10empty_typeENS0_5tupleIJPlSF_EEENSH_IJSI_SG_EEENS0_18inequality_wrapperIN6hipcub16HIPCUB_304000_NS8EqualityEEESI_JSF_EEE10hipError_tPvRmT3_T4_T5_T6_T7_T9_mT8_P12ihipStream_tbDpT10_ENKUlT_T0_E_clISt17integral_constantIbLb1EES19_EEDaS14_S15_EUlS14_E_NS1_11comp_targetILNS1_3genE3ELNS1_11target_archE908ELNS1_3gpuE7ELNS1_3repE0EEENS1_30default_config_static_selectorELNS0_4arch9wavefront6targetE1EEEvT1_
	.p2align	8
	.type	_ZN7rocprim17ROCPRIM_400000_NS6detail17trampoline_kernelINS0_14default_configENS1_25partition_config_selectorILNS1_17partition_subalgoE9EllbEEZZNS1_14partition_implILS5_9ELb0ES3_jPKlN6thrust23THRUST_200600_302600_NS17counting_iteratorIlNSB_11use_defaultESD_SD_EEPNS0_10empty_typeENS0_5tupleIJPlSF_EEENSH_IJSI_SG_EEENS0_18inequality_wrapperIN6hipcub16HIPCUB_304000_NS8EqualityEEESI_JSF_EEE10hipError_tPvRmT3_T4_T5_T6_T7_T9_mT8_P12ihipStream_tbDpT10_ENKUlT_T0_E_clISt17integral_constantIbLb1EES19_EEDaS14_S15_EUlS14_E_NS1_11comp_targetILNS1_3genE3ELNS1_11target_archE908ELNS1_3gpuE7ELNS1_3repE0EEENS1_30default_config_static_selectorELNS0_4arch9wavefront6targetE1EEEvT1_,@function
_ZN7rocprim17ROCPRIM_400000_NS6detail17trampoline_kernelINS0_14default_configENS1_25partition_config_selectorILNS1_17partition_subalgoE9EllbEEZZNS1_14partition_implILS5_9ELb0ES3_jPKlN6thrust23THRUST_200600_302600_NS17counting_iteratorIlNSB_11use_defaultESD_SD_EEPNS0_10empty_typeENS0_5tupleIJPlSF_EEENSH_IJSI_SG_EEENS0_18inequality_wrapperIN6hipcub16HIPCUB_304000_NS8EqualityEEESI_JSF_EEE10hipError_tPvRmT3_T4_T5_T6_T7_T9_mT8_P12ihipStream_tbDpT10_ENKUlT_T0_E_clISt17integral_constantIbLb1EES19_EEDaS14_S15_EUlS14_E_NS1_11comp_targetILNS1_3genE3ELNS1_11target_archE908ELNS1_3gpuE7ELNS1_3repE0EEENS1_30default_config_static_selectorELNS0_4arch9wavefront6targetE1EEEvT1_: ; @_ZN7rocprim17ROCPRIM_400000_NS6detail17trampoline_kernelINS0_14default_configENS1_25partition_config_selectorILNS1_17partition_subalgoE9EllbEEZZNS1_14partition_implILS5_9ELb0ES3_jPKlN6thrust23THRUST_200600_302600_NS17counting_iteratorIlNSB_11use_defaultESD_SD_EEPNS0_10empty_typeENS0_5tupleIJPlSF_EEENSH_IJSI_SG_EEENS0_18inequality_wrapperIN6hipcub16HIPCUB_304000_NS8EqualityEEESI_JSF_EEE10hipError_tPvRmT3_T4_T5_T6_T7_T9_mT8_P12ihipStream_tbDpT10_ENKUlT_T0_E_clISt17integral_constantIbLb1EES19_EEDaS14_S15_EUlS14_E_NS1_11comp_targetILNS1_3genE3ELNS1_11target_archE908ELNS1_3gpuE7ELNS1_3repE0EEENS1_30default_config_static_selectorELNS0_4arch9wavefront6targetE1EEEvT1_
; %bb.0:
	.section	.rodata,"a",@progbits
	.p2align	6, 0x0
	.amdhsa_kernel _ZN7rocprim17ROCPRIM_400000_NS6detail17trampoline_kernelINS0_14default_configENS1_25partition_config_selectorILNS1_17partition_subalgoE9EllbEEZZNS1_14partition_implILS5_9ELb0ES3_jPKlN6thrust23THRUST_200600_302600_NS17counting_iteratorIlNSB_11use_defaultESD_SD_EEPNS0_10empty_typeENS0_5tupleIJPlSF_EEENSH_IJSI_SG_EEENS0_18inequality_wrapperIN6hipcub16HIPCUB_304000_NS8EqualityEEESI_JSF_EEE10hipError_tPvRmT3_T4_T5_T6_T7_T9_mT8_P12ihipStream_tbDpT10_ENKUlT_T0_E_clISt17integral_constantIbLb1EES19_EEDaS14_S15_EUlS14_E_NS1_11comp_targetILNS1_3genE3ELNS1_11target_archE908ELNS1_3gpuE7ELNS1_3repE0EEENS1_30default_config_static_selectorELNS0_4arch9wavefront6targetE1EEEvT1_
		.amdhsa_group_segment_fixed_size 0
		.amdhsa_private_segment_fixed_size 0
		.amdhsa_kernarg_size 128
		.amdhsa_user_sgpr_count 2
		.amdhsa_user_sgpr_dispatch_ptr 0
		.amdhsa_user_sgpr_queue_ptr 0
		.amdhsa_user_sgpr_kernarg_segment_ptr 1
		.amdhsa_user_sgpr_dispatch_id 0
		.amdhsa_user_sgpr_kernarg_preload_length 0
		.amdhsa_user_sgpr_kernarg_preload_offset 0
		.amdhsa_user_sgpr_private_segment_size 0
		.amdhsa_uses_dynamic_stack 0
		.amdhsa_enable_private_segment 0
		.amdhsa_system_sgpr_workgroup_id_x 1
		.amdhsa_system_sgpr_workgroup_id_y 0
		.amdhsa_system_sgpr_workgroup_id_z 0
		.amdhsa_system_sgpr_workgroup_info 0
		.amdhsa_system_vgpr_workitem_id 0
		.amdhsa_next_free_vgpr 1
		.amdhsa_next_free_sgpr 0
		.amdhsa_accum_offset 4
		.amdhsa_reserve_vcc 0
		.amdhsa_float_round_mode_32 0
		.amdhsa_float_round_mode_16_64 0
		.amdhsa_float_denorm_mode_32 3
		.amdhsa_float_denorm_mode_16_64 3
		.amdhsa_dx10_clamp 1
		.amdhsa_ieee_mode 1
		.amdhsa_fp16_overflow 0
		.amdhsa_tg_split 0
		.amdhsa_exception_fp_ieee_invalid_op 0
		.amdhsa_exception_fp_denorm_src 0
		.amdhsa_exception_fp_ieee_div_zero 0
		.amdhsa_exception_fp_ieee_overflow 0
		.amdhsa_exception_fp_ieee_underflow 0
		.amdhsa_exception_fp_ieee_inexact 0
		.amdhsa_exception_int_div_zero 0
	.end_amdhsa_kernel
	.section	.text._ZN7rocprim17ROCPRIM_400000_NS6detail17trampoline_kernelINS0_14default_configENS1_25partition_config_selectorILNS1_17partition_subalgoE9EllbEEZZNS1_14partition_implILS5_9ELb0ES3_jPKlN6thrust23THRUST_200600_302600_NS17counting_iteratorIlNSB_11use_defaultESD_SD_EEPNS0_10empty_typeENS0_5tupleIJPlSF_EEENSH_IJSI_SG_EEENS0_18inequality_wrapperIN6hipcub16HIPCUB_304000_NS8EqualityEEESI_JSF_EEE10hipError_tPvRmT3_T4_T5_T6_T7_T9_mT8_P12ihipStream_tbDpT10_ENKUlT_T0_E_clISt17integral_constantIbLb1EES19_EEDaS14_S15_EUlS14_E_NS1_11comp_targetILNS1_3genE3ELNS1_11target_archE908ELNS1_3gpuE7ELNS1_3repE0EEENS1_30default_config_static_selectorELNS0_4arch9wavefront6targetE1EEEvT1_,"axG",@progbits,_ZN7rocprim17ROCPRIM_400000_NS6detail17trampoline_kernelINS0_14default_configENS1_25partition_config_selectorILNS1_17partition_subalgoE9EllbEEZZNS1_14partition_implILS5_9ELb0ES3_jPKlN6thrust23THRUST_200600_302600_NS17counting_iteratorIlNSB_11use_defaultESD_SD_EEPNS0_10empty_typeENS0_5tupleIJPlSF_EEENSH_IJSI_SG_EEENS0_18inequality_wrapperIN6hipcub16HIPCUB_304000_NS8EqualityEEESI_JSF_EEE10hipError_tPvRmT3_T4_T5_T6_T7_T9_mT8_P12ihipStream_tbDpT10_ENKUlT_T0_E_clISt17integral_constantIbLb1EES19_EEDaS14_S15_EUlS14_E_NS1_11comp_targetILNS1_3genE3ELNS1_11target_archE908ELNS1_3gpuE7ELNS1_3repE0EEENS1_30default_config_static_selectorELNS0_4arch9wavefront6targetE1EEEvT1_,comdat
.Lfunc_end55:
	.size	_ZN7rocprim17ROCPRIM_400000_NS6detail17trampoline_kernelINS0_14default_configENS1_25partition_config_selectorILNS1_17partition_subalgoE9EllbEEZZNS1_14partition_implILS5_9ELb0ES3_jPKlN6thrust23THRUST_200600_302600_NS17counting_iteratorIlNSB_11use_defaultESD_SD_EEPNS0_10empty_typeENS0_5tupleIJPlSF_EEENSH_IJSI_SG_EEENS0_18inequality_wrapperIN6hipcub16HIPCUB_304000_NS8EqualityEEESI_JSF_EEE10hipError_tPvRmT3_T4_T5_T6_T7_T9_mT8_P12ihipStream_tbDpT10_ENKUlT_T0_E_clISt17integral_constantIbLb1EES19_EEDaS14_S15_EUlS14_E_NS1_11comp_targetILNS1_3genE3ELNS1_11target_archE908ELNS1_3gpuE7ELNS1_3repE0EEENS1_30default_config_static_selectorELNS0_4arch9wavefront6targetE1EEEvT1_, .Lfunc_end55-_ZN7rocprim17ROCPRIM_400000_NS6detail17trampoline_kernelINS0_14default_configENS1_25partition_config_selectorILNS1_17partition_subalgoE9EllbEEZZNS1_14partition_implILS5_9ELb0ES3_jPKlN6thrust23THRUST_200600_302600_NS17counting_iteratorIlNSB_11use_defaultESD_SD_EEPNS0_10empty_typeENS0_5tupleIJPlSF_EEENSH_IJSI_SG_EEENS0_18inequality_wrapperIN6hipcub16HIPCUB_304000_NS8EqualityEEESI_JSF_EEE10hipError_tPvRmT3_T4_T5_T6_T7_T9_mT8_P12ihipStream_tbDpT10_ENKUlT_T0_E_clISt17integral_constantIbLb1EES19_EEDaS14_S15_EUlS14_E_NS1_11comp_targetILNS1_3genE3ELNS1_11target_archE908ELNS1_3gpuE7ELNS1_3repE0EEENS1_30default_config_static_selectorELNS0_4arch9wavefront6targetE1EEEvT1_
                                        ; -- End function
	.section	.AMDGPU.csdata,"",@progbits
; Kernel info:
; codeLenInByte = 0
; NumSgprs: 6
; NumVgprs: 0
; NumAgprs: 0
; TotalNumVgprs: 0
; ScratchSize: 0
; MemoryBound: 0
; FloatMode: 240
; IeeeMode: 1
; LDSByteSize: 0 bytes/workgroup (compile time only)
; SGPRBlocks: 0
; VGPRBlocks: 0
; NumSGPRsForWavesPerEU: 6
; NumVGPRsForWavesPerEU: 1
; AccumOffset: 4
; Occupancy: 8
; WaveLimiterHint : 0
; COMPUTE_PGM_RSRC2:SCRATCH_EN: 0
; COMPUTE_PGM_RSRC2:USER_SGPR: 2
; COMPUTE_PGM_RSRC2:TRAP_HANDLER: 0
; COMPUTE_PGM_RSRC2:TGID_X_EN: 1
; COMPUTE_PGM_RSRC2:TGID_Y_EN: 0
; COMPUTE_PGM_RSRC2:TGID_Z_EN: 0
; COMPUTE_PGM_RSRC2:TIDIG_COMP_CNT: 0
; COMPUTE_PGM_RSRC3_GFX90A:ACCUM_OFFSET: 0
; COMPUTE_PGM_RSRC3_GFX90A:TG_SPLIT: 0
	.section	.text._ZN7rocprim17ROCPRIM_400000_NS6detail17trampoline_kernelINS0_14default_configENS1_25partition_config_selectorILNS1_17partition_subalgoE9EllbEEZZNS1_14partition_implILS5_9ELb0ES3_jPKlN6thrust23THRUST_200600_302600_NS17counting_iteratorIlNSB_11use_defaultESD_SD_EEPNS0_10empty_typeENS0_5tupleIJPlSF_EEENSH_IJSI_SG_EEENS0_18inequality_wrapperIN6hipcub16HIPCUB_304000_NS8EqualityEEESI_JSF_EEE10hipError_tPvRmT3_T4_T5_T6_T7_T9_mT8_P12ihipStream_tbDpT10_ENKUlT_T0_E_clISt17integral_constantIbLb1EES19_EEDaS14_S15_EUlS14_E_NS1_11comp_targetILNS1_3genE2ELNS1_11target_archE906ELNS1_3gpuE6ELNS1_3repE0EEENS1_30default_config_static_selectorELNS0_4arch9wavefront6targetE1EEEvT1_,"axG",@progbits,_ZN7rocprim17ROCPRIM_400000_NS6detail17trampoline_kernelINS0_14default_configENS1_25partition_config_selectorILNS1_17partition_subalgoE9EllbEEZZNS1_14partition_implILS5_9ELb0ES3_jPKlN6thrust23THRUST_200600_302600_NS17counting_iteratorIlNSB_11use_defaultESD_SD_EEPNS0_10empty_typeENS0_5tupleIJPlSF_EEENSH_IJSI_SG_EEENS0_18inequality_wrapperIN6hipcub16HIPCUB_304000_NS8EqualityEEESI_JSF_EEE10hipError_tPvRmT3_T4_T5_T6_T7_T9_mT8_P12ihipStream_tbDpT10_ENKUlT_T0_E_clISt17integral_constantIbLb1EES19_EEDaS14_S15_EUlS14_E_NS1_11comp_targetILNS1_3genE2ELNS1_11target_archE906ELNS1_3gpuE6ELNS1_3repE0EEENS1_30default_config_static_selectorELNS0_4arch9wavefront6targetE1EEEvT1_,comdat
	.protected	_ZN7rocprim17ROCPRIM_400000_NS6detail17trampoline_kernelINS0_14default_configENS1_25partition_config_selectorILNS1_17partition_subalgoE9EllbEEZZNS1_14partition_implILS5_9ELb0ES3_jPKlN6thrust23THRUST_200600_302600_NS17counting_iteratorIlNSB_11use_defaultESD_SD_EEPNS0_10empty_typeENS0_5tupleIJPlSF_EEENSH_IJSI_SG_EEENS0_18inequality_wrapperIN6hipcub16HIPCUB_304000_NS8EqualityEEESI_JSF_EEE10hipError_tPvRmT3_T4_T5_T6_T7_T9_mT8_P12ihipStream_tbDpT10_ENKUlT_T0_E_clISt17integral_constantIbLb1EES19_EEDaS14_S15_EUlS14_E_NS1_11comp_targetILNS1_3genE2ELNS1_11target_archE906ELNS1_3gpuE6ELNS1_3repE0EEENS1_30default_config_static_selectorELNS0_4arch9wavefront6targetE1EEEvT1_ ; -- Begin function _ZN7rocprim17ROCPRIM_400000_NS6detail17trampoline_kernelINS0_14default_configENS1_25partition_config_selectorILNS1_17partition_subalgoE9EllbEEZZNS1_14partition_implILS5_9ELb0ES3_jPKlN6thrust23THRUST_200600_302600_NS17counting_iteratorIlNSB_11use_defaultESD_SD_EEPNS0_10empty_typeENS0_5tupleIJPlSF_EEENSH_IJSI_SG_EEENS0_18inequality_wrapperIN6hipcub16HIPCUB_304000_NS8EqualityEEESI_JSF_EEE10hipError_tPvRmT3_T4_T5_T6_T7_T9_mT8_P12ihipStream_tbDpT10_ENKUlT_T0_E_clISt17integral_constantIbLb1EES19_EEDaS14_S15_EUlS14_E_NS1_11comp_targetILNS1_3genE2ELNS1_11target_archE906ELNS1_3gpuE6ELNS1_3repE0EEENS1_30default_config_static_selectorELNS0_4arch9wavefront6targetE1EEEvT1_
	.globl	_ZN7rocprim17ROCPRIM_400000_NS6detail17trampoline_kernelINS0_14default_configENS1_25partition_config_selectorILNS1_17partition_subalgoE9EllbEEZZNS1_14partition_implILS5_9ELb0ES3_jPKlN6thrust23THRUST_200600_302600_NS17counting_iteratorIlNSB_11use_defaultESD_SD_EEPNS0_10empty_typeENS0_5tupleIJPlSF_EEENSH_IJSI_SG_EEENS0_18inequality_wrapperIN6hipcub16HIPCUB_304000_NS8EqualityEEESI_JSF_EEE10hipError_tPvRmT3_T4_T5_T6_T7_T9_mT8_P12ihipStream_tbDpT10_ENKUlT_T0_E_clISt17integral_constantIbLb1EES19_EEDaS14_S15_EUlS14_E_NS1_11comp_targetILNS1_3genE2ELNS1_11target_archE906ELNS1_3gpuE6ELNS1_3repE0EEENS1_30default_config_static_selectorELNS0_4arch9wavefront6targetE1EEEvT1_
	.p2align	8
	.type	_ZN7rocprim17ROCPRIM_400000_NS6detail17trampoline_kernelINS0_14default_configENS1_25partition_config_selectorILNS1_17partition_subalgoE9EllbEEZZNS1_14partition_implILS5_9ELb0ES3_jPKlN6thrust23THRUST_200600_302600_NS17counting_iteratorIlNSB_11use_defaultESD_SD_EEPNS0_10empty_typeENS0_5tupleIJPlSF_EEENSH_IJSI_SG_EEENS0_18inequality_wrapperIN6hipcub16HIPCUB_304000_NS8EqualityEEESI_JSF_EEE10hipError_tPvRmT3_T4_T5_T6_T7_T9_mT8_P12ihipStream_tbDpT10_ENKUlT_T0_E_clISt17integral_constantIbLb1EES19_EEDaS14_S15_EUlS14_E_NS1_11comp_targetILNS1_3genE2ELNS1_11target_archE906ELNS1_3gpuE6ELNS1_3repE0EEENS1_30default_config_static_selectorELNS0_4arch9wavefront6targetE1EEEvT1_,@function
_ZN7rocprim17ROCPRIM_400000_NS6detail17trampoline_kernelINS0_14default_configENS1_25partition_config_selectorILNS1_17partition_subalgoE9EllbEEZZNS1_14partition_implILS5_9ELb0ES3_jPKlN6thrust23THRUST_200600_302600_NS17counting_iteratorIlNSB_11use_defaultESD_SD_EEPNS0_10empty_typeENS0_5tupleIJPlSF_EEENSH_IJSI_SG_EEENS0_18inequality_wrapperIN6hipcub16HIPCUB_304000_NS8EqualityEEESI_JSF_EEE10hipError_tPvRmT3_T4_T5_T6_T7_T9_mT8_P12ihipStream_tbDpT10_ENKUlT_T0_E_clISt17integral_constantIbLb1EES19_EEDaS14_S15_EUlS14_E_NS1_11comp_targetILNS1_3genE2ELNS1_11target_archE906ELNS1_3gpuE6ELNS1_3repE0EEENS1_30default_config_static_selectorELNS0_4arch9wavefront6targetE1EEEvT1_: ; @_ZN7rocprim17ROCPRIM_400000_NS6detail17trampoline_kernelINS0_14default_configENS1_25partition_config_selectorILNS1_17partition_subalgoE9EllbEEZZNS1_14partition_implILS5_9ELb0ES3_jPKlN6thrust23THRUST_200600_302600_NS17counting_iteratorIlNSB_11use_defaultESD_SD_EEPNS0_10empty_typeENS0_5tupleIJPlSF_EEENSH_IJSI_SG_EEENS0_18inequality_wrapperIN6hipcub16HIPCUB_304000_NS8EqualityEEESI_JSF_EEE10hipError_tPvRmT3_T4_T5_T6_T7_T9_mT8_P12ihipStream_tbDpT10_ENKUlT_T0_E_clISt17integral_constantIbLb1EES19_EEDaS14_S15_EUlS14_E_NS1_11comp_targetILNS1_3genE2ELNS1_11target_archE906ELNS1_3gpuE6ELNS1_3repE0EEENS1_30default_config_static_selectorELNS0_4arch9wavefront6targetE1EEEvT1_
; %bb.0:
	.section	.rodata,"a",@progbits
	.p2align	6, 0x0
	.amdhsa_kernel _ZN7rocprim17ROCPRIM_400000_NS6detail17trampoline_kernelINS0_14default_configENS1_25partition_config_selectorILNS1_17partition_subalgoE9EllbEEZZNS1_14partition_implILS5_9ELb0ES3_jPKlN6thrust23THRUST_200600_302600_NS17counting_iteratorIlNSB_11use_defaultESD_SD_EEPNS0_10empty_typeENS0_5tupleIJPlSF_EEENSH_IJSI_SG_EEENS0_18inequality_wrapperIN6hipcub16HIPCUB_304000_NS8EqualityEEESI_JSF_EEE10hipError_tPvRmT3_T4_T5_T6_T7_T9_mT8_P12ihipStream_tbDpT10_ENKUlT_T0_E_clISt17integral_constantIbLb1EES19_EEDaS14_S15_EUlS14_E_NS1_11comp_targetILNS1_3genE2ELNS1_11target_archE906ELNS1_3gpuE6ELNS1_3repE0EEENS1_30default_config_static_selectorELNS0_4arch9wavefront6targetE1EEEvT1_
		.amdhsa_group_segment_fixed_size 0
		.amdhsa_private_segment_fixed_size 0
		.amdhsa_kernarg_size 128
		.amdhsa_user_sgpr_count 2
		.amdhsa_user_sgpr_dispatch_ptr 0
		.amdhsa_user_sgpr_queue_ptr 0
		.amdhsa_user_sgpr_kernarg_segment_ptr 1
		.amdhsa_user_sgpr_dispatch_id 0
		.amdhsa_user_sgpr_kernarg_preload_length 0
		.amdhsa_user_sgpr_kernarg_preload_offset 0
		.amdhsa_user_sgpr_private_segment_size 0
		.amdhsa_uses_dynamic_stack 0
		.amdhsa_enable_private_segment 0
		.amdhsa_system_sgpr_workgroup_id_x 1
		.amdhsa_system_sgpr_workgroup_id_y 0
		.amdhsa_system_sgpr_workgroup_id_z 0
		.amdhsa_system_sgpr_workgroup_info 0
		.amdhsa_system_vgpr_workitem_id 0
		.amdhsa_next_free_vgpr 1
		.amdhsa_next_free_sgpr 0
		.amdhsa_accum_offset 4
		.amdhsa_reserve_vcc 0
		.amdhsa_float_round_mode_32 0
		.amdhsa_float_round_mode_16_64 0
		.amdhsa_float_denorm_mode_32 3
		.amdhsa_float_denorm_mode_16_64 3
		.amdhsa_dx10_clamp 1
		.amdhsa_ieee_mode 1
		.amdhsa_fp16_overflow 0
		.amdhsa_tg_split 0
		.amdhsa_exception_fp_ieee_invalid_op 0
		.amdhsa_exception_fp_denorm_src 0
		.amdhsa_exception_fp_ieee_div_zero 0
		.amdhsa_exception_fp_ieee_overflow 0
		.amdhsa_exception_fp_ieee_underflow 0
		.amdhsa_exception_fp_ieee_inexact 0
		.amdhsa_exception_int_div_zero 0
	.end_amdhsa_kernel
	.section	.text._ZN7rocprim17ROCPRIM_400000_NS6detail17trampoline_kernelINS0_14default_configENS1_25partition_config_selectorILNS1_17partition_subalgoE9EllbEEZZNS1_14partition_implILS5_9ELb0ES3_jPKlN6thrust23THRUST_200600_302600_NS17counting_iteratorIlNSB_11use_defaultESD_SD_EEPNS0_10empty_typeENS0_5tupleIJPlSF_EEENSH_IJSI_SG_EEENS0_18inequality_wrapperIN6hipcub16HIPCUB_304000_NS8EqualityEEESI_JSF_EEE10hipError_tPvRmT3_T4_T5_T6_T7_T9_mT8_P12ihipStream_tbDpT10_ENKUlT_T0_E_clISt17integral_constantIbLb1EES19_EEDaS14_S15_EUlS14_E_NS1_11comp_targetILNS1_3genE2ELNS1_11target_archE906ELNS1_3gpuE6ELNS1_3repE0EEENS1_30default_config_static_selectorELNS0_4arch9wavefront6targetE1EEEvT1_,"axG",@progbits,_ZN7rocprim17ROCPRIM_400000_NS6detail17trampoline_kernelINS0_14default_configENS1_25partition_config_selectorILNS1_17partition_subalgoE9EllbEEZZNS1_14partition_implILS5_9ELb0ES3_jPKlN6thrust23THRUST_200600_302600_NS17counting_iteratorIlNSB_11use_defaultESD_SD_EEPNS0_10empty_typeENS0_5tupleIJPlSF_EEENSH_IJSI_SG_EEENS0_18inequality_wrapperIN6hipcub16HIPCUB_304000_NS8EqualityEEESI_JSF_EEE10hipError_tPvRmT3_T4_T5_T6_T7_T9_mT8_P12ihipStream_tbDpT10_ENKUlT_T0_E_clISt17integral_constantIbLb1EES19_EEDaS14_S15_EUlS14_E_NS1_11comp_targetILNS1_3genE2ELNS1_11target_archE906ELNS1_3gpuE6ELNS1_3repE0EEENS1_30default_config_static_selectorELNS0_4arch9wavefront6targetE1EEEvT1_,comdat
.Lfunc_end56:
	.size	_ZN7rocprim17ROCPRIM_400000_NS6detail17trampoline_kernelINS0_14default_configENS1_25partition_config_selectorILNS1_17partition_subalgoE9EllbEEZZNS1_14partition_implILS5_9ELb0ES3_jPKlN6thrust23THRUST_200600_302600_NS17counting_iteratorIlNSB_11use_defaultESD_SD_EEPNS0_10empty_typeENS0_5tupleIJPlSF_EEENSH_IJSI_SG_EEENS0_18inequality_wrapperIN6hipcub16HIPCUB_304000_NS8EqualityEEESI_JSF_EEE10hipError_tPvRmT3_T4_T5_T6_T7_T9_mT8_P12ihipStream_tbDpT10_ENKUlT_T0_E_clISt17integral_constantIbLb1EES19_EEDaS14_S15_EUlS14_E_NS1_11comp_targetILNS1_3genE2ELNS1_11target_archE906ELNS1_3gpuE6ELNS1_3repE0EEENS1_30default_config_static_selectorELNS0_4arch9wavefront6targetE1EEEvT1_, .Lfunc_end56-_ZN7rocprim17ROCPRIM_400000_NS6detail17trampoline_kernelINS0_14default_configENS1_25partition_config_selectorILNS1_17partition_subalgoE9EllbEEZZNS1_14partition_implILS5_9ELb0ES3_jPKlN6thrust23THRUST_200600_302600_NS17counting_iteratorIlNSB_11use_defaultESD_SD_EEPNS0_10empty_typeENS0_5tupleIJPlSF_EEENSH_IJSI_SG_EEENS0_18inequality_wrapperIN6hipcub16HIPCUB_304000_NS8EqualityEEESI_JSF_EEE10hipError_tPvRmT3_T4_T5_T6_T7_T9_mT8_P12ihipStream_tbDpT10_ENKUlT_T0_E_clISt17integral_constantIbLb1EES19_EEDaS14_S15_EUlS14_E_NS1_11comp_targetILNS1_3genE2ELNS1_11target_archE906ELNS1_3gpuE6ELNS1_3repE0EEENS1_30default_config_static_selectorELNS0_4arch9wavefront6targetE1EEEvT1_
                                        ; -- End function
	.section	.AMDGPU.csdata,"",@progbits
; Kernel info:
; codeLenInByte = 0
; NumSgprs: 6
; NumVgprs: 0
; NumAgprs: 0
; TotalNumVgprs: 0
; ScratchSize: 0
; MemoryBound: 0
; FloatMode: 240
; IeeeMode: 1
; LDSByteSize: 0 bytes/workgroup (compile time only)
; SGPRBlocks: 0
; VGPRBlocks: 0
; NumSGPRsForWavesPerEU: 6
; NumVGPRsForWavesPerEU: 1
; AccumOffset: 4
; Occupancy: 8
; WaveLimiterHint : 0
; COMPUTE_PGM_RSRC2:SCRATCH_EN: 0
; COMPUTE_PGM_RSRC2:USER_SGPR: 2
; COMPUTE_PGM_RSRC2:TRAP_HANDLER: 0
; COMPUTE_PGM_RSRC2:TGID_X_EN: 1
; COMPUTE_PGM_RSRC2:TGID_Y_EN: 0
; COMPUTE_PGM_RSRC2:TGID_Z_EN: 0
; COMPUTE_PGM_RSRC2:TIDIG_COMP_CNT: 0
; COMPUTE_PGM_RSRC3_GFX90A:ACCUM_OFFSET: 0
; COMPUTE_PGM_RSRC3_GFX90A:TG_SPLIT: 0
	.section	.text._ZN7rocprim17ROCPRIM_400000_NS6detail17trampoline_kernelINS0_14default_configENS1_25partition_config_selectorILNS1_17partition_subalgoE9EllbEEZZNS1_14partition_implILS5_9ELb0ES3_jPKlN6thrust23THRUST_200600_302600_NS17counting_iteratorIlNSB_11use_defaultESD_SD_EEPNS0_10empty_typeENS0_5tupleIJPlSF_EEENSH_IJSI_SG_EEENS0_18inequality_wrapperIN6hipcub16HIPCUB_304000_NS8EqualityEEESI_JSF_EEE10hipError_tPvRmT3_T4_T5_T6_T7_T9_mT8_P12ihipStream_tbDpT10_ENKUlT_T0_E_clISt17integral_constantIbLb1EES19_EEDaS14_S15_EUlS14_E_NS1_11comp_targetILNS1_3genE10ELNS1_11target_archE1200ELNS1_3gpuE4ELNS1_3repE0EEENS1_30default_config_static_selectorELNS0_4arch9wavefront6targetE1EEEvT1_,"axG",@progbits,_ZN7rocprim17ROCPRIM_400000_NS6detail17trampoline_kernelINS0_14default_configENS1_25partition_config_selectorILNS1_17partition_subalgoE9EllbEEZZNS1_14partition_implILS5_9ELb0ES3_jPKlN6thrust23THRUST_200600_302600_NS17counting_iteratorIlNSB_11use_defaultESD_SD_EEPNS0_10empty_typeENS0_5tupleIJPlSF_EEENSH_IJSI_SG_EEENS0_18inequality_wrapperIN6hipcub16HIPCUB_304000_NS8EqualityEEESI_JSF_EEE10hipError_tPvRmT3_T4_T5_T6_T7_T9_mT8_P12ihipStream_tbDpT10_ENKUlT_T0_E_clISt17integral_constantIbLb1EES19_EEDaS14_S15_EUlS14_E_NS1_11comp_targetILNS1_3genE10ELNS1_11target_archE1200ELNS1_3gpuE4ELNS1_3repE0EEENS1_30default_config_static_selectorELNS0_4arch9wavefront6targetE1EEEvT1_,comdat
	.protected	_ZN7rocprim17ROCPRIM_400000_NS6detail17trampoline_kernelINS0_14default_configENS1_25partition_config_selectorILNS1_17partition_subalgoE9EllbEEZZNS1_14partition_implILS5_9ELb0ES3_jPKlN6thrust23THRUST_200600_302600_NS17counting_iteratorIlNSB_11use_defaultESD_SD_EEPNS0_10empty_typeENS0_5tupleIJPlSF_EEENSH_IJSI_SG_EEENS0_18inequality_wrapperIN6hipcub16HIPCUB_304000_NS8EqualityEEESI_JSF_EEE10hipError_tPvRmT3_T4_T5_T6_T7_T9_mT8_P12ihipStream_tbDpT10_ENKUlT_T0_E_clISt17integral_constantIbLb1EES19_EEDaS14_S15_EUlS14_E_NS1_11comp_targetILNS1_3genE10ELNS1_11target_archE1200ELNS1_3gpuE4ELNS1_3repE0EEENS1_30default_config_static_selectorELNS0_4arch9wavefront6targetE1EEEvT1_ ; -- Begin function _ZN7rocprim17ROCPRIM_400000_NS6detail17trampoline_kernelINS0_14default_configENS1_25partition_config_selectorILNS1_17partition_subalgoE9EllbEEZZNS1_14partition_implILS5_9ELb0ES3_jPKlN6thrust23THRUST_200600_302600_NS17counting_iteratorIlNSB_11use_defaultESD_SD_EEPNS0_10empty_typeENS0_5tupleIJPlSF_EEENSH_IJSI_SG_EEENS0_18inequality_wrapperIN6hipcub16HIPCUB_304000_NS8EqualityEEESI_JSF_EEE10hipError_tPvRmT3_T4_T5_T6_T7_T9_mT8_P12ihipStream_tbDpT10_ENKUlT_T0_E_clISt17integral_constantIbLb1EES19_EEDaS14_S15_EUlS14_E_NS1_11comp_targetILNS1_3genE10ELNS1_11target_archE1200ELNS1_3gpuE4ELNS1_3repE0EEENS1_30default_config_static_selectorELNS0_4arch9wavefront6targetE1EEEvT1_
	.globl	_ZN7rocprim17ROCPRIM_400000_NS6detail17trampoline_kernelINS0_14default_configENS1_25partition_config_selectorILNS1_17partition_subalgoE9EllbEEZZNS1_14partition_implILS5_9ELb0ES3_jPKlN6thrust23THRUST_200600_302600_NS17counting_iteratorIlNSB_11use_defaultESD_SD_EEPNS0_10empty_typeENS0_5tupleIJPlSF_EEENSH_IJSI_SG_EEENS0_18inequality_wrapperIN6hipcub16HIPCUB_304000_NS8EqualityEEESI_JSF_EEE10hipError_tPvRmT3_T4_T5_T6_T7_T9_mT8_P12ihipStream_tbDpT10_ENKUlT_T0_E_clISt17integral_constantIbLb1EES19_EEDaS14_S15_EUlS14_E_NS1_11comp_targetILNS1_3genE10ELNS1_11target_archE1200ELNS1_3gpuE4ELNS1_3repE0EEENS1_30default_config_static_selectorELNS0_4arch9wavefront6targetE1EEEvT1_
	.p2align	8
	.type	_ZN7rocprim17ROCPRIM_400000_NS6detail17trampoline_kernelINS0_14default_configENS1_25partition_config_selectorILNS1_17partition_subalgoE9EllbEEZZNS1_14partition_implILS5_9ELb0ES3_jPKlN6thrust23THRUST_200600_302600_NS17counting_iteratorIlNSB_11use_defaultESD_SD_EEPNS0_10empty_typeENS0_5tupleIJPlSF_EEENSH_IJSI_SG_EEENS0_18inequality_wrapperIN6hipcub16HIPCUB_304000_NS8EqualityEEESI_JSF_EEE10hipError_tPvRmT3_T4_T5_T6_T7_T9_mT8_P12ihipStream_tbDpT10_ENKUlT_T0_E_clISt17integral_constantIbLb1EES19_EEDaS14_S15_EUlS14_E_NS1_11comp_targetILNS1_3genE10ELNS1_11target_archE1200ELNS1_3gpuE4ELNS1_3repE0EEENS1_30default_config_static_selectorELNS0_4arch9wavefront6targetE1EEEvT1_,@function
_ZN7rocprim17ROCPRIM_400000_NS6detail17trampoline_kernelINS0_14default_configENS1_25partition_config_selectorILNS1_17partition_subalgoE9EllbEEZZNS1_14partition_implILS5_9ELb0ES3_jPKlN6thrust23THRUST_200600_302600_NS17counting_iteratorIlNSB_11use_defaultESD_SD_EEPNS0_10empty_typeENS0_5tupleIJPlSF_EEENSH_IJSI_SG_EEENS0_18inequality_wrapperIN6hipcub16HIPCUB_304000_NS8EqualityEEESI_JSF_EEE10hipError_tPvRmT3_T4_T5_T6_T7_T9_mT8_P12ihipStream_tbDpT10_ENKUlT_T0_E_clISt17integral_constantIbLb1EES19_EEDaS14_S15_EUlS14_E_NS1_11comp_targetILNS1_3genE10ELNS1_11target_archE1200ELNS1_3gpuE4ELNS1_3repE0EEENS1_30default_config_static_selectorELNS0_4arch9wavefront6targetE1EEEvT1_: ; @_ZN7rocprim17ROCPRIM_400000_NS6detail17trampoline_kernelINS0_14default_configENS1_25partition_config_selectorILNS1_17partition_subalgoE9EllbEEZZNS1_14partition_implILS5_9ELb0ES3_jPKlN6thrust23THRUST_200600_302600_NS17counting_iteratorIlNSB_11use_defaultESD_SD_EEPNS0_10empty_typeENS0_5tupleIJPlSF_EEENSH_IJSI_SG_EEENS0_18inequality_wrapperIN6hipcub16HIPCUB_304000_NS8EqualityEEESI_JSF_EEE10hipError_tPvRmT3_T4_T5_T6_T7_T9_mT8_P12ihipStream_tbDpT10_ENKUlT_T0_E_clISt17integral_constantIbLb1EES19_EEDaS14_S15_EUlS14_E_NS1_11comp_targetILNS1_3genE10ELNS1_11target_archE1200ELNS1_3gpuE4ELNS1_3repE0EEENS1_30default_config_static_selectorELNS0_4arch9wavefront6targetE1EEEvT1_
; %bb.0:
	.section	.rodata,"a",@progbits
	.p2align	6, 0x0
	.amdhsa_kernel _ZN7rocprim17ROCPRIM_400000_NS6detail17trampoline_kernelINS0_14default_configENS1_25partition_config_selectorILNS1_17partition_subalgoE9EllbEEZZNS1_14partition_implILS5_9ELb0ES3_jPKlN6thrust23THRUST_200600_302600_NS17counting_iteratorIlNSB_11use_defaultESD_SD_EEPNS0_10empty_typeENS0_5tupleIJPlSF_EEENSH_IJSI_SG_EEENS0_18inequality_wrapperIN6hipcub16HIPCUB_304000_NS8EqualityEEESI_JSF_EEE10hipError_tPvRmT3_T4_T5_T6_T7_T9_mT8_P12ihipStream_tbDpT10_ENKUlT_T0_E_clISt17integral_constantIbLb1EES19_EEDaS14_S15_EUlS14_E_NS1_11comp_targetILNS1_3genE10ELNS1_11target_archE1200ELNS1_3gpuE4ELNS1_3repE0EEENS1_30default_config_static_selectorELNS0_4arch9wavefront6targetE1EEEvT1_
		.amdhsa_group_segment_fixed_size 0
		.amdhsa_private_segment_fixed_size 0
		.amdhsa_kernarg_size 128
		.amdhsa_user_sgpr_count 2
		.amdhsa_user_sgpr_dispatch_ptr 0
		.amdhsa_user_sgpr_queue_ptr 0
		.amdhsa_user_sgpr_kernarg_segment_ptr 1
		.amdhsa_user_sgpr_dispatch_id 0
		.amdhsa_user_sgpr_kernarg_preload_length 0
		.amdhsa_user_sgpr_kernarg_preload_offset 0
		.amdhsa_user_sgpr_private_segment_size 0
		.amdhsa_uses_dynamic_stack 0
		.amdhsa_enable_private_segment 0
		.amdhsa_system_sgpr_workgroup_id_x 1
		.amdhsa_system_sgpr_workgroup_id_y 0
		.amdhsa_system_sgpr_workgroup_id_z 0
		.amdhsa_system_sgpr_workgroup_info 0
		.amdhsa_system_vgpr_workitem_id 0
		.amdhsa_next_free_vgpr 1
		.amdhsa_next_free_sgpr 0
		.amdhsa_accum_offset 4
		.amdhsa_reserve_vcc 0
		.amdhsa_float_round_mode_32 0
		.amdhsa_float_round_mode_16_64 0
		.amdhsa_float_denorm_mode_32 3
		.amdhsa_float_denorm_mode_16_64 3
		.amdhsa_dx10_clamp 1
		.amdhsa_ieee_mode 1
		.amdhsa_fp16_overflow 0
		.amdhsa_tg_split 0
		.amdhsa_exception_fp_ieee_invalid_op 0
		.amdhsa_exception_fp_denorm_src 0
		.amdhsa_exception_fp_ieee_div_zero 0
		.amdhsa_exception_fp_ieee_overflow 0
		.amdhsa_exception_fp_ieee_underflow 0
		.amdhsa_exception_fp_ieee_inexact 0
		.amdhsa_exception_int_div_zero 0
	.end_amdhsa_kernel
	.section	.text._ZN7rocprim17ROCPRIM_400000_NS6detail17trampoline_kernelINS0_14default_configENS1_25partition_config_selectorILNS1_17partition_subalgoE9EllbEEZZNS1_14partition_implILS5_9ELb0ES3_jPKlN6thrust23THRUST_200600_302600_NS17counting_iteratorIlNSB_11use_defaultESD_SD_EEPNS0_10empty_typeENS0_5tupleIJPlSF_EEENSH_IJSI_SG_EEENS0_18inequality_wrapperIN6hipcub16HIPCUB_304000_NS8EqualityEEESI_JSF_EEE10hipError_tPvRmT3_T4_T5_T6_T7_T9_mT8_P12ihipStream_tbDpT10_ENKUlT_T0_E_clISt17integral_constantIbLb1EES19_EEDaS14_S15_EUlS14_E_NS1_11comp_targetILNS1_3genE10ELNS1_11target_archE1200ELNS1_3gpuE4ELNS1_3repE0EEENS1_30default_config_static_selectorELNS0_4arch9wavefront6targetE1EEEvT1_,"axG",@progbits,_ZN7rocprim17ROCPRIM_400000_NS6detail17trampoline_kernelINS0_14default_configENS1_25partition_config_selectorILNS1_17partition_subalgoE9EllbEEZZNS1_14partition_implILS5_9ELb0ES3_jPKlN6thrust23THRUST_200600_302600_NS17counting_iteratorIlNSB_11use_defaultESD_SD_EEPNS0_10empty_typeENS0_5tupleIJPlSF_EEENSH_IJSI_SG_EEENS0_18inequality_wrapperIN6hipcub16HIPCUB_304000_NS8EqualityEEESI_JSF_EEE10hipError_tPvRmT3_T4_T5_T6_T7_T9_mT8_P12ihipStream_tbDpT10_ENKUlT_T0_E_clISt17integral_constantIbLb1EES19_EEDaS14_S15_EUlS14_E_NS1_11comp_targetILNS1_3genE10ELNS1_11target_archE1200ELNS1_3gpuE4ELNS1_3repE0EEENS1_30default_config_static_selectorELNS0_4arch9wavefront6targetE1EEEvT1_,comdat
.Lfunc_end57:
	.size	_ZN7rocprim17ROCPRIM_400000_NS6detail17trampoline_kernelINS0_14default_configENS1_25partition_config_selectorILNS1_17partition_subalgoE9EllbEEZZNS1_14partition_implILS5_9ELb0ES3_jPKlN6thrust23THRUST_200600_302600_NS17counting_iteratorIlNSB_11use_defaultESD_SD_EEPNS0_10empty_typeENS0_5tupleIJPlSF_EEENSH_IJSI_SG_EEENS0_18inequality_wrapperIN6hipcub16HIPCUB_304000_NS8EqualityEEESI_JSF_EEE10hipError_tPvRmT3_T4_T5_T6_T7_T9_mT8_P12ihipStream_tbDpT10_ENKUlT_T0_E_clISt17integral_constantIbLb1EES19_EEDaS14_S15_EUlS14_E_NS1_11comp_targetILNS1_3genE10ELNS1_11target_archE1200ELNS1_3gpuE4ELNS1_3repE0EEENS1_30default_config_static_selectorELNS0_4arch9wavefront6targetE1EEEvT1_, .Lfunc_end57-_ZN7rocprim17ROCPRIM_400000_NS6detail17trampoline_kernelINS0_14default_configENS1_25partition_config_selectorILNS1_17partition_subalgoE9EllbEEZZNS1_14partition_implILS5_9ELb0ES3_jPKlN6thrust23THRUST_200600_302600_NS17counting_iteratorIlNSB_11use_defaultESD_SD_EEPNS0_10empty_typeENS0_5tupleIJPlSF_EEENSH_IJSI_SG_EEENS0_18inequality_wrapperIN6hipcub16HIPCUB_304000_NS8EqualityEEESI_JSF_EEE10hipError_tPvRmT3_T4_T5_T6_T7_T9_mT8_P12ihipStream_tbDpT10_ENKUlT_T0_E_clISt17integral_constantIbLb1EES19_EEDaS14_S15_EUlS14_E_NS1_11comp_targetILNS1_3genE10ELNS1_11target_archE1200ELNS1_3gpuE4ELNS1_3repE0EEENS1_30default_config_static_selectorELNS0_4arch9wavefront6targetE1EEEvT1_
                                        ; -- End function
	.section	.AMDGPU.csdata,"",@progbits
; Kernel info:
; codeLenInByte = 0
; NumSgprs: 6
; NumVgprs: 0
; NumAgprs: 0
; TotalNumVgprs: 0
; ScratchSize: 0
; MemoryBound: 0
; FloatMode: 240
; IeeeMode: 1
; LDSByteSize: 0 bytes/workgroup (compile time only)
; SGPRBlocks: 0
; VGPRBlocks: 0
; NumSGPRsForWavesPerEU: 6
; NumVGPRsForWavesPerEU: 1
; AccumOffset: 4
; Occupancy: 8
; WaveLimiterHint : 0
; COMPUTE_PGM_RSRC2:SCRATCH_EN: 0
; COMPUTE_PGM_RSRC2:USER_SGPR: 2
; COMPUTE_PGM_RSRC2:TRAP_HANDLER: 0
; COMPUTE_PGM_RSRC2:TGID_X_EN: 1
; COMPUTE_PGM_RSRC2:TGID_Y_EN: 0
; COMPUTE_PGM_RSRC2:TGID_Z_EN: 0
; COMPUTE_PGM_RSRC2:TIDIG_COMP_CNT: 0
; COMPUTE_PGM_RSRC3_GFX90A:ACCUM_OFFSET: 0
; COMPUTE_PGM_RSRC3_GFX90A:TG_SPLIT: 0
	.section	.text._ZN7rocprim17ROCPRIM_400000_NS6detail17trampoline_kernelINS0_14default_configENS1_25partition_config_selectorILNS1_17partition_subalgoE9EllbEEZZNS1_14partition_implILS5_9ELb0ES3_jPKlN6thrust23THRUST_200600_302600_NS17counting_iteratorIlNSB_11use_defaultESD_SD_EEPNS0_10empty_typeENS0_5tupleIJPlSF_EEENSH_IJSI_SG_EEENS0_18inequality_wrapperIN6hipcub16HIPCUB_304000_NS8EqualityEEESI_JSF_EEE10hipError_tPvRmT3_T4_T5_T6_T7_T9_mT8_P12ihipStream_tbDpT10_ENKUlT_T0_E_clISt17integral_constantIbLb1EES19_EEDaS14_S15_EUlS14_E_NS1_11comp_targetILNS1_3genE9ELNS1_11target_archE1100ELNS1_3gpuE3ELNS1_3repE0EEENS1_30default_config_static_selectorELNS0_4arch9wavefront6targetE1EEEvT1_,"axG",@progbits,_ZN7rocprim17ROCPRIM_400000_NS6detail17trampoline_kernelINS0_14default_configENS1_25partition_config_selectorILNS1_17partition_subalgoE9EllbEEZZNS1_14partition_implILS5_9ELb0ES3_jPKlN6thrust23THRUST_200600_302600_NS17counting_iteratorIlNSB_11use_defaultESD_SD_EEPNS0_10empty_typeENS0_5tupleIJPlSF_EEENSH_IJSI_SG_EEENS0_18inequality_wrapperIN6hipcub16HIPCUB_304000_NS8EqualityEEESI_JSF_EEE10hipError_tPvRmT3_T4_T5_T6_T7_T9_mT8_P12ihipStream_tbDpT10_ENKUlT_T0_E_clISt17integral_constantIbLb1EES19_EEDaS14_S15_EUlS14_E_NS1_11comp_targetILNS1_3genE9ELNS1_11target_archE1100ELNS1_3gpuE3ELNS1_3repE0EEENS1_30default_config_static_selectorELNS0_4arch9wavefront6targetE1EEEvT1_,comdat
	.protected	_ZN7rocprim17ROCPRIM_400000_NS6detail17trampoline_kernelINS0_14default_configENS1_25partition_config_selectorILNS1_17partition_subalgoE9EllbEEZZNS1_14partition_implILS5_9ELb0ES3_jPKlN6thrust23THRUST_200600_302600_NS17counting_iteratorIlNSB_11use_defaultESD_SD_EEPNS0_10empty_typeENS0_5tupleIJPlSF_EEENSH_IJSI_SG_EEENS0_18inequality_wrapperIN6hipcub16HIPCUB_304000_NS8EqualityEEESI_JSF_EEE10hipError_tPvRmT3_T4_T5_T6_T7_T9_mT8_P12ihipStream_tbDpT10_ENKUlT_T0_E_clISt17integral_constantIbLb1EES19_EEDaS14_S15_EUlS14_E_NS1_11comp_targetILNS1_3genE9ELNS1_11target_archE1100ELNS1_3gpuE3ELNS1_3repE0EEENS1_30default_config_static_selectorELNS0_4arch9wavefront6targetE1EEEvT1_ ; -- Begin function _ZN7rocprim17ROCPRIM_400000_NS6detail17trampoline_kernelINS0_14default_configENS1_25partition_config_selectorILNS1_17partition_subalgoE9EllbEEZZNS1_14partition_implILS5_9ELb0ES3_jPKlN6thrust23THRUST_200600_302600_NS17counting_iteratorIlNSB_11use_defaultESD_SD_EEPNS0_10empty_typeENS0_5tupleIJPlSF_EEENSH_IJSI_SG_EEENS0_18inequality_wrapperIN6hipcub16HIPCUB_304000_NS8EqualityEEESI_JSF_EEE10hipError_tPvRmT3_T4_T5_T6_T7_T9_mT8_P12ihipStream_tbDpT10_ENKUlT_T0_E_clISt17integral_constantIbLb1EES19_EEDaS14_S15_EUlS14_E_NS1_11comp_targetILNS1_3genE9ELNS1_11target_archE1100ELNS1_3gpuE3ELNS1_3repE0EEENS1_30default_config_static_selectorELNS0_4arch9wavefront6targetE1EEEvT1_
	.globl	_ZN7rocprim17ROCPRIM_400000_NS6detail17trampoline_kernelINS0_14default_configENS1_25partition_config_selectorILNS1_17partition_subalgoE9EllbEEZZNS1_14partition_implILS5_9ELb0ES3_jPKlN6thrust23THRUST_200600_302600_NS17counting_iteratorIlNSB_11use_defaultESD_SD_EEPNS0_10empty_typeENS0_5tupleIJPlSF_EEENSH_IJSI_SG_EEENS0_18inequality_wrapperIN6hipcub16HIPCUB_304000_NS8EqualityEEESI_JSF_EEE10hipError_tPvRmT3_T4_T5_T6_T7_T9_mT8_P12ihipStream_tbDpT10_ENKUlT_T0_E_clISt17integral_constantIbLb1EES19_EEDaS14_S15_EUlS14_E_NS1_11comp_targetILNS1_3genE9ELNS1_11target_archE1100ELNS1_3gpuE3ELNS1_3repE0EEENS1_30default_config_static_selectorELNS0_4arch9wavefront6targetE1EEEvT1_
	.p2align	8
	.type	_ZN7rocprim17ROCPRIM_400000_NS6detail17trampoline_kernelINS0_14default_configENS1_25partition_config_selectorILNS1_17partition_subalgoE9EllbEEZZNS1_14partition_implILS5_9ELb0ES3_jPKlN6thrust23THRUST_200600_302600_NS17counting_iteratorIlNSB_11use_defaultESD_SD_EEPNS0_10empty_typeENS0_5tupleIJPlSF_EEENSH_IJSI_SG_EEENS0_18inequality_wrapperIN6hipcub16HIPCUB_304000_NS8EqualityEEESI_JSF_EEE10hipError_tPvRmT3_T4_T5_T6_T7_T9_mT8_P12ihipStream_tbDpT10_ENKUlT_T0_E_clISt17integral_constantIbLb1EES19_EEDaS14_S15_EUlS14_E_NS1_11comp_targetILNS1_3genE9ELNS1_11target_archE1100ELNS1_3gpuE3ELNS1_3repE0EEENS1_30default_config_static_selectorELNS0_4arch9wavefront6targetE1EEEvT1_,@function
_ZN7rocprim17ROCPRIM_400000_NS6detail17trampoline_kernelINS0_14default_configENS1_25partition_config_selectorILNS1_17partition_subalgoE9EllbEEZZNS1_14partition_implILS5_9ELb0ES3_jPKlN6thrust23THRUST_200600_302600_NS17counting_iteratorIlNSB_11use_defaultESD_SD_EEPNS0_10empty_typeENS0_5tupleIJPlSF_EEENSH_IJSI_SG_EEENS0_18inequality_wrapperIN6hipcub16HIPCUB_304000_NS8EqualityEEESI_JSF_EEE10hipError_tPvRmT3_T4_T5_T6_T7_T9_mT8_P12ihipStream_tbDpT10_ENKUlT_T0_E_clISt17integral_constantIbLb1EES19_EEDaS14_S15_EUlS14_E_NS1_11comp_targetILNS1_3genE9ELNS1_11target_archE1100ELNS1_3gpuE3ELNS1_3repE0EEENS1_30default_config_static_selectorELNS0_4arch9wavefront6targetE1EEEvT1_: ; @_ZN7rocprim17ROCPRIM_400000_NS6detail17trampoline_kernelINS0_14default_configENS1_25partition_config_selectorILNS1_17partition_subalgoE9EllbEEZZNS1_14partition_implILS5_9ELb0ES3_jPKlN6thrust23THRUST_200600_302600_NS17counting_iteratorIlNSB_11use_defaultESD_SD_EEPNS0_10empty_typeENS0_5tupleIJPlSF_EEENSH_IJSI_SG_EEENS0_18inequality_wrapperIN6hipcub16HIPCUB_304000_NS8EqualityEEESI_JSF_EEE10hipError_tPvRmT3_T4_T5_T6_T7_T9_mT8_P12ihipStream_tbDpT10_ENKUlT_T0_E_clISt17integral_constantIbLb1EES19_EEDaS14_S15_EUlS14_E_NS1_11comp_targetILNS1_3genE9ELNS1_11target_archE1100ELNS1_3gpuE3ELNS1_3repE0EEENS1_30default_config_static_selectorELNS0_4arch9wavefront6targetE1EEEvT1_
; %bb.0:
	.section	.rodata,"a",@progbits
	.p2align	6, 0x0
	.amdhsa_kernel _ZN7rocprim17ROCPRIM_400000_NS6detail17trampoline_kernelINS0_14default_configENS1_25partition_config_selectorILNS1_17partition_subalgoE9EllbEEZZNS1_14partition_implILS5_9ELb0ES3_jPKlN6thrust23THRUST_200600_302600_NS17counting_iteratorIlNSB_11use_defaultESD_SD_EEPNS0_10empty_typeENS0_5tupleIJPlSF_EEENSH_IJSI_SG_EEENS0_18inequality_wrapperIN6hipcub16HIPCUB_304000_NS8EqualityEEESI_JSF_EEE10hipError_tPvRmT3_T4_T5_T6_T7_T9_mT8_P12ihipStream_tbDpT10_ENKUlT_T0_E_clISt17integral_constantIbLb1EES19_EEDaS14_S15_EUlS14_E_NS1_11comp_targetILNS1_3genE9ELNS1_11target_archE1100ELNS1_3gpuE3ELNS1_3repE0EEENS1_30default_config_static_selectorELNS0_4arch9wavefront6targetE1EEEvT1_
		.amdhsa_group_segment_fixed_size 0
		.amdhsa_private_segment_fixed_size 0
		.amdhsa_kernarg_size 128
		.amdhsa_user_sgpr_count 2
		.amdhsa_user_sgpr_dispatch_ptr 0
		.amdhsa_user_sgpr_queue_ptr 0
		.amdhsa_user_sgpr_kernarg_segment_ptr 1
		.amdhsa_user_sgpr_dispatch_id 0
		.amdhsa_user_sgpr_kernarg_preload_length 0
		.amdhsa_user_sgpr_kernarg_preload_offset 0
		.amdhsa_user_sgpr_private_segment_size 0
		.amdhsa_uses_dynamic_stack 0
		.amdhsa_enable_private_segment 0
		.amdhsa_system_sgpr_workgroup_id_x 1
		.amdhsa_system_sgpr_workgroup_id_y 0
		.amdhsa_system_sgpr_workgroup_id_z 0
		.amdhsa_system_sgpr_workgroup_info 0
		.amdhsa_system_vgpr_workitem_id 0
		.amdhsa_next_free_vgpr 1
		.amdhsa_next_free_sgpr 0
		.amdhsa_accum_offset 4
		.amdhsa_reserve_vcc 0
		.amdhsa_float_round_mode_32 0
		.amdhsa_float_round_mode_16_64 0
		.amdhsa_float_denorm_mode_32 3
		.amdhsa_float_denorm_mode_16_64 3
		.amdhsa_dx10_clamp 1
		.amdhsa_ieee_mode 1
		.amdhsa_fp16_overflow 0
		.amdhsa_tg_split 0
		.amdhsa_exception_fp_ieee_invalid_op 0
		.amdhsa_exception_fp_denorm_src 0
		.amdhsa_exception_fp_ieee_div_zero 0
		.amdhsa_exception_fp_ieee_overflow 0
		.amdhsa_exception_fp_ieee_underflow 0
		.amdhsa_exception_fp_ieee_inexact 0
		.amdhsa_exception_int_div_zero 0
	.end_amdhsa_kernel
	.section	.text._ZN7rocprim17ROCPRIM_400000_NS6detail17trampoline_kernelINS0_14default_configENS1_25partition_config_selectorILNS1_17partition_subalgoE9EllbEEZZNS1_14partition_implILS5_9ELb0ES3_jPKlN6thrust23THRUST_200600_302600_NS17counting_iteratorIlNSB_11use_defaultESD_SD_EEPNS0_10empty_typeENS0_5tupleIJPlSF_EEENSH_IJSI_SG_EEENS0_18inequality_wrapperIN6hipcub16HIPCUB_304000_NS8EqualityEEESI_JSF_EEE10hipError_tPvRmT3_T4_T5_T6_T7_T9_mT8_P12ihipStream_tbDpT10_ENKUlT_T0_E_clISt17integral_constantIbLb1EES19_EEDaS14_S15_EUlS14_E_NS1_11comp_targetILNS1_3genE9ELNS1_11target_archE1100ELNS1_3gpuE3ELNS1_3repE0EEENS1_30default_config_static_selectorELNS0_4arch9wavefront6targetE1EEEvT1_,"axG",@progbits,_ZN7rocprim17ROCPRIM_400000_NS6detail17trampoline_kernelINS0_14default_configENS1_25partition_config_selectorILNS1_17partition_subalgoE9EllbEEZZNS1_14partition_implILS5_9ELb0ES3_jPKlN6thrust23THRUST_200600_302600_NS17counting_iteratorIlNSB_11use_defaultESD_SD_EEPNS0_10empty_typeENS0_5tupleIJPlSF_EEENSH_IJSI_SG_EEENS0_18inequality_wrapperIN6hipcub16HIPCUB_304000_NS8EqualityEEESI_JSF_EEE10hipError_tPvRmT3_T4_T5_T6_T7_T9_mT8_P12ihipStream_tbDpT10_ENKUlT_T0_E_clISt17integral_constantIbLb1EES19_EEDaS14_S15_EUlS14_E_NS1_11comp_targetILNS1_3genE9ELNS1_11target_archE1100ELNS1_3gpuE3ELNS1_3repE0EEENS1_30default_config_static_selectorELNS0_4arch9wavefront6targetE1EEEvT1_,comdat
.Lfunc_end58:
	.size	_ZN7rocprim17ROCPRIM_400000_NS6detail17trampoline_kernelINS0_14default_configENS1_25partition_config_selectorILNS1_17partition_subalgoE9EllbEEZZNS1_14partition_implILS5_9ELb0ES3_jPKlN6thrust23THRUST_200600_302600_NS17counting_iteratorIlNSB_11use_defaultESD_SD_EEPNS0_10empty_typeENS0_5tupleIJPlSF_EEENSH_IJSI_SG_EEENS0_18inequality_wrapperIN6hipcub16HIPCUB_304000_NS8EqualityEEESI_JSF_EEE10hipError_tPvRmT3_T4_T5_T6_T7_T9_mT8_P12ihipStream_tbDpT10_ENKUlT_T0_E_clISt17integral_constantIbLb1EES19_EEDaS14_S15_EUlS14_E_NS1_11comp_targetILNS1_3genE9ELNS1_11target_archE1100ELNS1_3gpuE3ELNS1_3repE0EEENS1_30default_config_static_selectorELNS0_4arch9wavefront6targetE1EEEvT1_, .Lfunc_end58-_ZN7rocprim17ROCPRIM_400000_NS6detail17trampoline_kernelINS0_14default_configENS1_25partition_config_selectorILNS1_17partition_subalgoE9EllbEEZZNS1_14partition_implILS5_9ELb0ES3_jPKlN6thrust23THRUST_200600_302600_NS17counting_iteratorIlNSB_11use_defaultESD_SD_EEPNS0_10empty_typeENS0_5tupleIJPlSF_EEENSH_IJSI_SG_EEENS0_18inequality_wrapperIN6hipcub16HIPCUB_304000_NS8EqualityEEESI_JSF_EEE10hipError_tPvRmT3_T4_T5_T6_T7_T9_mT8_P12ihipStream_tbDpT10_ENKUlT_T0_E_clISt17integral_constantIbLb1EES19_EEDaS14_S15_EUlS14_E_NS1_11comp_targetILNS1_3genE9ELNS1_11target_archE1100ELNS1_3gpuE3ELNS1_3repE0EEENS1_30default_config_static_selectorELNS0_4arch9wavefront6targetE1EEEvT1_
                                        ; -- End function
	.section	.AMDGPU.csdata,"",@progbits
; Kernel info:
; codeLenInByte = 0
; NumSgprs: 6
; NumVgprs: 0
; NumAgprs: 0
; TotalNumVgprs: 0
; ScratchSize: 0
; MemoryBound: 0
; FloatMode: 240
; IeeeMode: 1
; LDSByteSize: 0 bytes/workgroup (compile time only)
; SGPRBlocks: 0
; VGPRBlocks: 0
; NumSGPRsForWavesPerEU: 6
; NumVGPRsForWavesPerEU: 1
; AccumOffset: 4
; Occupancy: 8
; WaveLimiterHint : 0
; COMPUTE_PGM_RSRC2:SCRATCH_EN: 0
; COMPUTE_PGM_RSRC2:USER_SGPR: 2
; COMPUTE_PGM_RSRC2:TRAP_HANDLER: 0
; COMPUTE_PGM_RSRC2:TGID_X_EN: 1
; COMPUTE_PGM_RSRC2:TGID_Y_EN: 0
; COMPUTE_PGM_RSRC2:TGID_Z_EN: 0
; COMPUTE_PGM_RSRC2:TIDIG_COMP_CNT: 0
; COMPUTE_PGM_RSRC3_GFX90A:ACCUM_OFFSET: 0
; COMPUTE_PGM_RSRC3_GFX90A:TG_SPLIT: 0
	.section	.text._ZN7rocprim17ROCPRIM_400000_NS6detail17trampoline_kernelINS0_14default_configENS1_25partition_config_selectorILNS1_17partition_subalgoE9EllbEEZZNS1_14partition_implILS5_9ELb0ES3_jPKlN6thrust23THRUST_200600_302600_NS17counting_iteratorIlNSB_11use_defaultESD_SD_EEPNS0_10empty_typeENS0_5tupleIJPlSF_EEENSH_IJSI_SG_EEENS0_18inequality_wrapperIN6hipcub16HIPCUB_304000_NS8EqualityEEESI_JSF_EEE10hipError_tPvRmT3_T4_T5_T6_T7_T9_mT8_P12ihipStream_tbDpT10_ENKUlT_T0_E_clISt17integral_constantIbLb1EES19_EEDaS14_S15_EUlS14_E_NS1_11comp_targetILNS1_3genE8ELNS1_11target_archE1030ELNS1_3gpuE2ELNS1_3repE0EEENS1_30default_config_static_selectorELNS0_4arch9wavefront6targetE1EEEvT1_,"axG",@progbits,_ZN7rocprim17ROCPRIM_400000_NS6detail17trampoline_kernelINS0_14default_configENS1_25partition_config_selectorILNS1_17partition_subalgoE9EllbEEZZNS1_14partition_implILS5_9ELb0ES3_jPKlN6thrust23THRUST_200600_302600_NS17counting_iteratorIlNSB_11use_defaultESD_SD_EEPNS0_10empty_typeENS0_5tupleIJPlSF_EEENSH_IJSI_SG_EEENS0_18inequality_wrapperIN6hipcub16HIPCUB_304000_NS8EqualityEEESI_JSF_EEE10hipError_tPvRmT3_T4_T5_T6_T7_T9_mT8_P12ihipStream_tbDpT10_ENKUlT_T0_E_clISt17integral_constantIbLb1EES19_EEDaS14_S15_EUlS14_E_NS1_11comp_targetILNS1_3genE8ELNS1_11target_archE1030ELNS1_3gpuE2ELNS1_3repE0EEENS1_30default_config_static_selectorELNS0_4arch9wavefront6targetE1EEEvT1_,comdat
	.protected	_ZN7rocprim17ROCPRIM_400000_NS6detail17trampoline_kernelINS0_14default_configENS1_25partition_config_selectorILNS1_17partition_subalgoE9EllbEEZZNS1_14partition_implILS5_9ELb0ES3_jPKlN6thrust23THRUST_200600_302600_NS17counting_iteratorIlNSB_11use_defaultESD_SD_EEPNS0_10empty_typeENS0_5tupleIJPlSF_EEENSH_IJSI_SG_EEENS0_18inequality_wrapperIN6hipcub16HIPCUB_304000_NS8EqualityEEESI_JSF_EEE10hipError_tPvRmT3_T4_T5_T6_T7_T9_mT8_P12ihipStream_tbDpT10_ENKUlT_T0_E_clISt17integral_constantIbLb1EES19_EEDaS14_S15_EUlS14_E_NS1_11comp_targetILNS1_3genE8ELNS1_11target_archE1030ELNS1_3gpuE2ELNS1_3repE0EEENS1_30default_config_static_selectorELNS0_4arch9wavefront6targetE1EEEvT1_ ; -- Begin function _ZN7rocprim17ROCPRIM_400000_NS6detail17trampoline_kernelINS0_14default_configENS1_25partition_config_selectorILNS1_17partition_subalgoE9EllbEEZZNS1_14partition_implILS5_9ELb0ES3_jPKlN6thrust23THRUST_200600_302600_NS17counting_iteratorIlNSB_11use_defaultESD_SD_EEPNS0_10empty_typeENS0_5tupleIJPlSF_EEENSH_IJSI_SG_EEENS0_18inequality_wrapperIN6hipcub16HIPCUB_304000_NS8EqualityEEESI_JSF_EEE10hipError_tPvRmT3_T4_T5_T6_T7_T9_mT8_P12ihipStream_tbDpT10_ENKUlT_T0_E_clISt17integral_constantIbLb1EES19_EEDaS14_S15_EUlS14_E_NS1_11comp_targetILNS1_3genE8ELNS1_11target_archE1030ELNS1_3gpuE2ELNS1_3repE0EEENS1_30default_config_static_selectorELNS0_4arch9wavefront6targetE1EEEvT1_
	.globl	_ZN7rocprim17ROCPRIM_400000_NS6detail17trampoline_kernelINS0_14default_configENS1_25partition_config_selectorILNS1_17partition_subalgoE9EllbEEZZNS1_14partition_implILS5_9ELb0ES3_jPKlN6thrust23THRUST_200600_302600_NS17counting_iteratorIlNSB_11use_defaultESD_SD_EEPNS0_10empty_typeENS0_5tupleIJPlSF_EEENSH_IJSI_SG_EEENS0_18inequality_wrapperIN6hipcub16HIPCUB_304000_NS8EqualityEEESI_JSF_EEE10hipError_tPvRmT3_T4_T5_T6_T7_T9_mT8_P12ihipStream_tbDpT10_ENKUlT_T0_E_clISt17integral_constantIbLb1EES19_EEDaS14_S15_EUlS14_E_NS1_11comp_targetILNS1_3genE8ELNS1_11target_archE1030ELNS1_3gpuE2ELNS1_3repE0EEENS1_30default_config_static_selectorELNS0_4arch9wavefront6targetE1EEEvT1_
	.p2align	8
	.type	_ZN7rocprim17ROCPRIM_400000_NS6detail17trampoline_kernelINS0_14default_configENS1_25partition_config_selectorILNS1_17partition_subalgoE9EllbEEZZNS1_14partition_implILS5_9ELb0ES3_jPKlN6thrust23THRUST_200600_302600_NS17counting_iteratorIlNSB_11use_defaultESD_SD_EEPNS0_10empty_typeENS0_5tupleIJPlSF_EEENSH_IJSI_SG_EEENS0_18inequality_wrapperIN6hipcub16HIPCUB_304000_NS8EqualityEEESI_JSF_EEE10hipError_tPvRmT3_T4_T5_T6_T7_T9_mT8_P12ihipStream_tbDpT10_ENKUlT_T0_E_clISt17integral_constantIbLb1EES19_EEDaS14_S15_EUlS14_E_NS1_11comp_targetILNS1_3genE8ELNS1_11target_archE1030ELNS1_3gpuE2ELNS1_3repE0EEENS1_30default_config_static_selectorELNS0_4arch9wavefront6targetE1EEEvT1_,@function
_ZN7rocprim17ROCPRIM_400000_NS6detail17trampoline_kernelINS0_14default_configENS1_25partition_config_selectorILNS1_17partition_subalgoE9EllbEEZZNS1_14partition_implILS5_9ELb0ES3_jPKlN6thrust23THRUST_200600_302600_NS17counting_iteratorIlNSB_11use_defaultESD_SD_EEPNS0_10empty_typeENS0_5tupleIJPlSF_EEENSH_IJSI_SG_EEENS0_18inequality_wrapperIN6hipcub16HIPCUB_304000_NS8EqualityEEESI_JSF_EEE10hipError_tPvRmT3_T4_T5_T6_T7_T9_mT8_P12ihipStream_tbDpT10_ENKUlT_T0_E_clISt17integral_constantIbLb1EES19_EEDaS14_S15_EUlS14_E_NS1_11comp_targetILNS1_3genE8ELNS1_11target_archE1030ELNS1_3gpuE2ELNS1_3repE0EEENS1_30default_config_static_selectorELNS0_4arch9wavefront6targetE1EEEvT1_: ; @_ZN7rocprim17ROCPRIM_400000_NS6detail17trampoline_kernelINS0_14default_configENS1_25partition_config_selectorILNS1_17partition_subalgoE9EllbEEZZNS1_14partition_implILS5_9ELb0ES3_jPKlN6thrust23THRUST_200600_302600_NS17counting_iteratorIlNSB_11use_defaultESD_SD_EEPNS0_10empty_typeENS0_5tupleIJPlSF_EEENSH_IJSI_SG_EEENS0_18inequality_wrapperIN6hipcub16HIPCUB_304000_NS8EqualityEEESI_JSF_EEE10hipError_tPvRmT3_T4_T5_T6_T7_T9_mT8_P12ihipStream_tbDpT10_ENKUlT_T0_E_clISt17integral_constantIbLb1EES19_EEDaS14_S15_EUlS14_E_NS1_11comp_targetILNS1_3genE8ELNS1_11target_archE1030ELNS1_3gpuE2ELNS1_3repE0EEENS1_30default_config_static_selectorELNS0_4arch9wavefront6targetE1EEEvT1_
; %bb.0:
	.section	.rodata,"a",@progbits
	.p2align	6, 0x0
	.amdhsa_kernel _ZN7rocprim17ROCPRIM_400000_NS6detail17trampoline_kernelINS0_14default_configENS1_25partition_config_selectorILNS1_17partition_subalgoE9EllbEEZZNS1_14partition_implILS5_9ELb0ES3_jPKlN6thrust23THRUST_200600_302600_NS17counting_iteratorIlNSB_11use_defaultESD_SD_EEPNS0_10empty_typeENS0_5tupleIJPlSF_EEENSH_IJSI_SG_EEENS0_18inequality_wrapperIN6hipcub16HIPCUB_304000_NS8EqualityEEESI_JSF_EEE10hipError_tPvRmT3_T4_T5_T6_T7_T9_mT8_P12ihipStream_tbDpT10_ENKUlT_T0_E_clISt17integral_constantIbLb1EES19_EEDaS14_S15_EUlS14_E_NS1_11comp_targetILNS1_3genE8ELNS1_11target_archE1030ELNS1_3gpuE2ELNS1_3repE0EEENS1_30default_config_static_selectorELNS0_4arch9wavefront6targetE1EEEvT1_
		.amdhsa_group_segment_fixed_size 0
		.amdhsa_private_segment_fixed_size 0
		.amdhsa_kernarg_size 128
		.amdhsa_user_sgpr_count 2
		.amdhsa_user_sgpr_dispatch_ptr 0
		.amdhsa_user_sgpr_queue_ptr 0
		.amdhsa_user_sgpr_kernarg_segment_ptr 1
		.amdhsa_user_sgpr_dispatch_id 0
		.amdhsa_user_sgpr_kernarg_preload_length 0
		.amdhsa_user_sgpr_kernarg_preload_offset 0
		.amdhsa_user_sgpr_private_segment_size 0
		.amdhsa_uses_dynamic_stack 0
		.amdhsa_enable_private_segment 0
		.amdhsa_system_sgpr_workgroup_id_x 1
		.amdhsa_system_sgpr_workgroup_id_y 0
		.amdhsa_system_sgpr_workgroup_id_z 0
		.amdhsa_system_sgpr_workgroup_info 0
		.amdhsa_system_vgpr_workitem_id 0
		.amdhsa_next_free_vgpr 1
		.amdhsa_next_free_sgpr 0
		.amdhsa_accum_offset 4
		.amdhsa_reserve_vcc 0
		.amdhsa_float_round_mode_32 0
		.amdhsa_float_round_mode_16_64 0
		.amdhsa_float_denorm_mode_32 3
		.amdhsa_float_denorm_mode_16_64 3
		.amdhsa_dx10_clamp 1
		.amdhsa_ieee_mode 1
		.amdhsa_fp16_overflow 0
		.amdhsa_tg_split 0
		.amdhsa_exception_fp_ieee_invalid_op 0
		.amdhsa_exception_fp_denorm_src 0
		.amdhsa_exception_fp_ieee_div_zero 0
		.amdhsa_exception_fp_ieee_overflow 0
		.amdhsa_exception_fp_ieee_underflow 0
		.amdhsa_exception_fp_ieee_inexact 0
		.amdhsa_exception_int_div_zero 0
	.end_amdhsa_kernel
	.section	.text._ZN7rocprim17ROCPRIM_400000_NS6detail17trampoline_kernelINS0_14default_configENS1_25partition_config_selectorILNS1_17partition_subalgoE9EllbEEZZNS1_14partition_implILS5_9ELb0ES3_jPKlN6thrust23THRUST_200600_302600_NS17counting_iteratorIlNSB_11use_defaultESD_SD_EEPNS0_10empty_typeENS0_5tupleIJPlSF_EEENSH_IJSI_SG_EEENS0_18inequality_wrapperIN6hipcub16HIPCUB_304000_NS8EqualityEEESI_JSF_EEE10hipError_tPvRmT3_T4_T5_T6_T7_T9_mT8_P12ihipStream_tbDpT10_ENKUlT_T0_E_clISt17integral_constantIbLb1EES19_EEDaS14_S15_EUlS14_E_NS1_11comp_targetILNS1_3genE8ELNS1_11target_archE1030ELNS1_3gpuE2ELNS1_3repE0EEENS1_30default_config_static_selectorELNS0_4arch9wavefront6targetE1EEEvT1_,"axG",@progbits,_ZN7rocprim17ROCPRIM_400000_NS6detail17trampoline_kernelINS0_14default_configENS1_25partition_config_selectorILNS1_17partition_subalgoE9EllbEEZZNS1_14partition_implILS5_9ELb0ES3_jPKlN6thrust23THRUST_200600_302600_NS17counting_iteratorIlNSB_11use_defaultESD_SD_EEPNS0_10empty_typeENS0_5tupleIJPlSF_EEENSH_IJSI_SG_EEENS0_18inequality_wrapperIN6hipcub16HIPCUB_304000_NS8EqualityEEESI_JSF_EEE10hipError_tPvRmT3_T4_T5_T6_T7_T9_mT8_P12ihipStream_tbDpT10_ENKUlT_T0_E_clISt17integral_constantIbLb1EES19_EEDaS14_S15_EUlS14_E_NS1_11comp_targetILNS1_3genE8ELNS1_11target_archE1030ELNS1_3gpuE2ELNS1_3repE0EEENS1_30default_config_static_selectorELNS0_4arch9wavefront6targetE1EEEvT1_,comdat
.Lfunc_end59:
	.size	_ZN7rocprim17ROCPRIM_400000_NS6detail17trampoline_kernelINS0_14default_configENS1_25partition_config_selectorILNS1_17partition_subalgoE9EllbEEZZNS1_14partition_implILS5_9ELb0ES3_jPKlN6thrust23THRUST_200600_302600_NS17counting_iteratorIlNSB_11use_defaultESD_SD_EEPNS0_10empty_typeENS0_5tupleIJPlSF_EEENSH_IJSI_SG_EEENS0_18inequality_wrapperIN6hipcub16HIPCUB_304000_NS8EqualityEEESI_JSF_EEE10hipError_tPvRmT3_T4_T5_T6_T7_T9_mT8_P12ihipStream_tbDpT10_ENKUlT_T0_E_clISt17integral_constantIbLb1EES19_EEDaS14_S15_EUlS14_E_NS1_11comp_targetILNS1_3genE8ELNS1_11target_archE1030ELNS1_3gpuE2ELNS1_3repE0EEENS1_30default_config_static_selectorELNS0_4arch9wavefront6targetE1EEEvT1_, .Lfunc_end59-_ZN7rocprim17ROCPRIM_400000_NS6detail17trampoline_kernelINS0_14default_configENS1_25partition_config_selectorILNS1_17partition_subalgoE9EllbEEZZNS1_14partition_implILS5_9ELb0ES3_jPKlN6thrust23THRUST_200600_302600_NS17counting_iteratorIlNSB_11use_defaultESD_SD_EEPNS0_10empty_typeENS0_5tupleIJPlSF_EEENSH_IJSI_SG_EEENS0_18inequality_wrapperIN6hipcub16HIPCUB_304000_NS8EqualityEEESI_JSF_EEE10hipError_tPvRmT3_T4_T5_T6_T7_T9_mT8_P12ihipStream_tbDpT10_ENKUlT_T0_E_clISt17integral_constantIbLb1EES19_EEDaS14_S15_EUlS14_E_NS1_11comp_targetILNS1_3genE8ELNS1_11target_archE1030ELNS1_3gpuE2ELNS1_3repE0EEENS1_30default_config_static_selectorELNS0_4arch9wavefront6targetE1EEEvT1_
                                        ; -- End function
	.section	.AMDGPU.csdata,"",@progbits
; Kernel info:
; codeLenInByte = 0
; NumSgprs: 6
; NumVgprs: 0
; NumAgprs: 0
; TotalNumVgprs: 0
; ScratchSize: 0
; MemoryBound: 0
; FloatMode: 240
; IeeeMode: 1
; LDSByteSize: 0 bytes/workgroup (compile time only)
; SGPRBlocks: 0
; VGPRBlocks: 0
; NumSGPRsForWavesPerEU: 6
; NumVGPRsForWavesPerEU: 1
; AccumOffset: 4
; Occupancy: 8
; WaveLimiterHint : 0
; COMPUTE_PGM_RSRC2:SCRATCH_EN: 0
; COMPUTE_PGM_RSRC2:USER_SGPR: 2
; COMPUTE_PGM_RSRC2:TRAP_HANDLER: 0
; COMPUTE_PGM_RSRC2:TGID_X_EN: 1
; COMPUTE_PGM_RSRC2:TGID_Y_EN: 0
; COMPUTE_PGM_RSRC2:TGID_Z_EN: 0
; COMPUTE_PGM_RSRC2:TIDIG_COMP_CNT: 0
; COMPUTE_PGM_RSRC3_GFX90A:ACCUM_OFFSET: 0
; COMPUTE_PGM_RSRC3_GFX90A:TG_SPLIT: 0
	.section	.text._ZN7rocprim17ROCPRIM_400000_NS6detail17trampoline_kernelINS0_14default_configENS1_25partition_config_selectorILNS1_17partition_subalgoE9EllbEEZZNS1_14partition_implILS5_9ELb0ES3_jPKlN6thrust23THRUST_200600_302600_NS17counting_iteratorIlNSB_11use_defaultESD_SD_EEPNS0_10empty_typeENS0_5tupleIJPlSF_EEENSH_IJSI_SG_EEENS0_18inequality_wrapperIN6hipcub16HIPCUB_304000_NS8EqualityEEESI_JSF_EEE10hipError_tPvRmT3_T4_T5_T6_T7_T9_mT8_P12ihipStream_tbDpT10_ENKUlT_T0_E_clISt17integral_constantIbLb1EES18_IbLb0EEEEDaS14_S15_EUlS14_E_NS1_11comp_targetILNS1_3genE0ELNS1_11target_archE4294967295ELNS1_3gpuE0ELNS1_3repE0EEENS1_30default_config_static_selectorELNS0_4arch9wavefront6targetE1EEEvT1_,"axG",@progbits,_ZN7rocprim17ROCPRIM_400000_NS6detail17trampoline_kernelINS0_14default_configENS1_25partition_config_selectorILNS1_17partition_subalgoE9EllbEEZZNS1_14partition_implILS5_9ELb0ES3_jPKlN6thrust23THRUST_200600_302600_NS17counting_iteratorIlNSB_11use_defaultESD_SD_EEPNS0_10empty_typeENS0_5tupleIJPlSF_EEENSH_IJSI_SG_EEENS0_18inequality_wrapperIN6hipcub16HIPCUB_304000_NS8EqualityEEESI_JSF_EEE10hipError_tPvRmT3_T4_T5_T6_T7_T9_mT8_P12ihipStream_tbDpT10_ENKUlT_T0_E_clISt17integral_constantIbLb1EES18_IbLb0EEEEDaS14_S15_EUlS14_E_NS1_11comp_targetILNS1_3genE0ELNS1_11target_archE4294967295ELNS1_3gpuE0ELNS1_3repE0EEENS1_30default_config_static_selectorELNS0_4arch9wavefront6targetE1EEEvT1_,comdat
	.protected	_ZN7rocprim17ROCPRIM_400000_NS6detail17trampoline_kernelINS0_14default_configENS1_25partition_config_selectorILNS1_17partition_subalgoE9EllbEEZZNS1_14partition_implILS5_9ELb0ES3_jPKlN6thrust23THRUST_200600_302600_NS17counting_iteratorIlNSB_11use_defaultESD_SD_EEPNS0_10empty_typeENS0_5tupleIJPlSF_EEENSH_IJSI_SG_EEENS0_18inequality_wrapperIN6hipcub16HIPCUB_304000_NS8EqualityEEESI_JSF_EEE10hipError_tPvRmT3_T4_T5_T6_T7_T9_mT8_P12ihipStream_tbDpT10_ENKUlT_T0_E_clISt17integral_constantIbLb1EES18_IbLb0EEEEDaS14_S15_EUlS14_E_NS1_11comp_targetILNS1_3genE0ELNS1_11target_archE4294967295ELNS1_3gpuE0ELNS1_3repE0EEENS1_30default_config_static_selectorELNS0_4arch9wavefront6targetE1EEEvT1_ ; -- Begin function _ZN7rocprim17ROCPRIM_400000_NS6detail17trampoline_kernelINS0_14default_configENS1_25partition_config_selectorILNS1_17partition_subalgoE9EllbEEZZNS1_14partition_implILS5_9ELb0ES3_jPKlN6thrust23THRUST_200600_302600_NS17counting_iteratorIlNSB_11use_defaultESD_SD_EEPNS0_10empty_typeENS0_5tupleIJPlSF_EEENSH_IJSI_SG_EEENS0_18inequality_wrapperIN6hipcub16HIPCUB_304000_NS8EqualityEEESI_JSF_EEE10hipError_tPvRmT3_T4_T5_T6_T7_T9_mT8_P12ihipStream_tbDpT10_ENKUlT_T0_E_clISt17integral_constantIbLb1EES18_IbLb0EEEEDaS14_S15_EUlS14_E_NS1_11comp_targetILNS1_3genE0ELNS1_11target_archE4294967295ELNS1_3gpuE0ELNS1_3repE0EEENS1_30default_config_static_selectorELNS0_4arch9wavefront6targetE1EEEvT1_
	.globl	_ZN7rocprim17ROCPRIM_400000_NS6detail17trampoline_kernelINS0_14default_configENS1_25partition_config_selectorILNS1_17partition_subalgoE9EllbEEZZNS1_14partition_implILS5_9ELb0ES3_jPKlN6thrust23THRUST_200600_302600_NS17counting_iteratorIlNSB_11use_defaultESD_SD_EEPNS0_10empty_typeENS0_5tupleIJPlSF_EEENSH_IJSI_SG_EEENS0_18inequality_wrapperIN6hipcub16HIPCUB_304000_NS8EqualityEEESI_JSF_EEE10hipError_tPvRmT3_T4_T5_T6_T7_T9_mT8_P12ihipStream_tbDpT10_ENKUlT_T0_E_clISt17integral_constantIbLb1EES18_IbLb0EEEEDaS14_S15_EUlS14_E_NS1_11comp_targetILNS1_3genE0ELNS1_11target_archE4294967295ELNS1_3gpuE0ELNS1_3repE0EEENS1_30default_config_static_selectorELNS0_4arch9wavefront6targetE1EEEvT1_
	.p2align	8
	.type	_ZN7rocprim17ROCPRIM_400000_NS6detail17trampoline_kernelINS0_14default_configENS1_25partition_config_selectorILNS1_17partition_subalgoE9EllbEEZZNS1_14partition_implILS5_9ELb0ES3_jPKlN6thrust23THRUST_200600_302600_NS17counting_iteratorIlNSB_11use_defaultESD_SD_EEPNS0_10empty_typeENS0_5tupleIJPlSF_EEENSH_IJSI_SG_EEENS0_18inequality_wrapperIN6hipcub16HIPCUB_304000_NS8EqualityEEESI_JSF_EEE10hipError_tPvRmT3_T4_T5_T6_T7_T9_mT8_P12ihipStream_tbDpT10_ENKUlT_T0_E_clISt17integral_constantIbLb1EES18_IbLb0EEEEDaS14_S15_EUlS14_E_NS1_11comp_targetILNS1_3genE0ELNS1_11target_archE4294967295ELNS1_3gpuE0ELNS1_3repE0EEENS1_30default_config_static_selectorELNS0_4arch9wavefront6targetE1EEEvT1_,@function
_ZN7rocprim17ROCPRIM_400000_NS6detail17trampoline_kernelINS0_14default_configENS1_25partition_config_selectorILNS1_17partition_subalgoE9EllbEEZZNS1_14partition_implILS5_9ELb0ES3_jPKlN6thrust23THRUST_200600_302600_NS17counting_iteratorIlNSB_11use_defaultESD_SD_EEPNS0_10empty_typeENS0_5tupleIJPlSF_EEENSH_IJSI_SG_EEENS0_18inequality_wrapperIN6hipcub16HIPCUB_304000_NS8EqualityEEESI_JSF_EEE10hipError_tPvRmT3_T4_T5_T6_T7_T9_mT8_P12ihipStream_tbDpT10_ENKUlT_T0_E_clISt17integral_constantIbLb1EES18_IbLb0EEEEDaS14_S15_EUlS14_E_NS1_11comp_targetILNS1_3genE0ELNS1_11target_archE4294967295ELNS1_3gpuE0ELNS1_3repE0EEENS1_30default_config_static_selectorELNS0_4arch9wavefront6targetE1EEEvT1_: ; @_ZN7rocprim17ROCPRIM_400000_NS6detail17trampoline_kernelINS0_14default_configENS1_25partition_config_selectorILNS1_17partition_subalgoE9EllbEEZZNS1_14partition_implILS5_9ELb0ES3_jPKlN6thrust23THRUST_200600_302600_NS17counting_iteratorIlNSB_11use_defaultESD_SD_EEPNS0_10empty_typeENS0_5tupleIJPlSF_EEENSH_IJSI_SG_EEENS0_18inequality_wrapperIN6hipcub16HIPCUB_304000_NS8EqualityEEESI_JSF_EEE10hipError_tPvRmT3_T4_T5_T6_T7_T9_mT8_P12ihipStream_tbDpT10_ENKUlT_T0_E_clISt17integral_constantIbLb1EES18_IbLb0EEEEDaS14_S15_EUlS14_E_NS1_11comp_targetILNS1_3genE0ELNS1_11target_archE4294967295ELNS1_3gpuE0ELNS1_3repE0EEENS1_30default_config_static_selectorELNS0_4arch9wavefront6targetE1EEEvT1_
; %bb.0:
	.section	.rodata,"a",@progbits
	.p2align	6, 0x0
	.amdhsa_kernel _ZN7rocprim17ROCPRIM_400000_NS6detail17trampoline_kernelINS0_14default_configENS1_25partition_config_selectorILNS1_17partition_subalgoE9EllbEEZZNS1_14partition_implILS5_9ELb0ES3_jPKlN6thrust23THRUST_200600_302600_NS17counting_iteratorIlNSB_11use_defaultESD_SD_EEPNS0_10empty_typeENS0_5tupleIJPlSF_EEENSH_IJSI_SG_EEENS0_18inequality_wrapperIN6hipcub16HIPCUB_304000_NS8EqualityEEESI_JSF_EEE10hipError_tPvRmT3_T4_T5_T6_T7_T9_mT8_P12ihipStream_tbDpT10_ENKUlT_T0_E_clISt17integral_constantIbLb1EES18_IbLb0EEEEDaS14_S15_EUlS14_E_NS1_11comp_targetILNS1_3genE0ELNS1_11target_archE4294967295ELNS1_3gpuE0ELNS1_3repE0EEENS1_30default_config_static_selectorELNS0_4arch9wavefront6targetE1EEEvT1_
		.amdhsa_group_segment_fixed_size 0
		.amdhsa_private_segment_fixed_size 0
		.amdhsa_kernarg_size 112
		.amdhsa_user_sgpr_count 2
		.amdhsa_user_sgpr_dispatch_ptr 0
		.amdhsa_user_sgpr_queue_ptr 0
		.amdhsa_user_sgpr_kernarg_segment_ptr 1
		.amdhsa_user_sgpr_dispatch_id 0
		.amdhsa_user_sgpr_kernarg_preload_length 0
		.amdhsa_user_sgpr_kernarg_preload_offset 0
		.amdhsa_user_sgpr_private_segment_size 0
		.amdhsa_uses_dynamic_stack 0
		.amdhsa_enable_private_segment 0
		.amdhsa_system_sgpr_workgroup_id_x 1
		.amdhsa_system_sgpr_workgroup_id_y 0
		.amdhsa_system_sgpr_workgroup_id_z 0
		.amdhsa_system_sgpr_workgroup_info 0
		.amdhsa_system_vgpr_workitem_id 0
		.amdhsa_next_free_vgpr 1
		.amdhsa_next_free_sgpr 0
		.amdhsa_accum_offset 4
		.amdhsa_reserve_vcc 0
		.amdhsa_float_round_mode_32 0
		.amdhsa_float_round_mode_16_64 0
		.amdhsa_float_denorm_mode_32 3
		.amdhsa_float_denorm_mode_16_64 3
		.amdhsa_dx10_clamp 1
		.amdhsa_ieee_mode 1
		.amdhsa_fp16_overflow 0
		.amdhsa_tg_split 0
		.amdhsa_exception_fp_ieee_invalid_op 0
		.amdhsa_exception_fp_denorm_src 0
		.amdhsa_exception_fp_ieee_div_zero 0
		.amdhsa_exception_fp_ieee_overflow 0
		.amdhsa_exception_fp_ieee_underflow 0
		.amdhsa_exception_fp_ieee_inexact 0
		.amdhsa_exception_int_div_zero 0
	.end_amdhsa_kernel
	.section	.text._ZN7rocprim17ROCPRIM_400000_NS6detail17trampoline_kernelINS0_14default_configENS1_25partition_config_selectorILNS1_17partition_subalgoE9EllbEEZZNS1_14partition_implILS5_9ELb0ES3_jPKlN6thrust23THRUST_200600_302600_NS17counting_iteratorIlNSB_11use_defaultESD_SD_EEPNS0_10empty_typeENS0_5tupleIJPlSF_EEENSH_IJSI_SG_EEENS0_18inequality_wrapperIN6hipcub16HIPCUB_304000_NS8EqualityEEESI_JSF_EEE10hipError_tPvRmT3_T4_T5_T6_T7_T9_mT8_P12ihipStream_tbDpT10_ENKUlT_T0_E_clISt17integral_constantIbLb1EES18_IbLb0EEEEDaS14_S15_EUlS14_E_NS1_11comp_targetILNS1_3genE0ELNS1_11target_archE4294967295ELNS1_3gpuE0ELNS1_3repE0EEENS1_30default_config_static_selectorELNS0_4arch9wavefront6targetE1EEEvT1_,"axG",@progbits,_ZN7rocprim17ROCPRIM_400000_NS6detail17trampoline_kernelINS0_14default_configENS1_25partition_config_selectorILNS1_17partition_subalgoE9EllbEEZZNS1_14partition_implILS5_9ELb0ES3_jPKlN6thrust23THRUST_200600_302600_NS17counting_iteratorIlNSB_11use_defaultESD_SD_EEPNS0_10empty_typeENS0_5tupleIJPlSF_EEENSH_IJSI_SG_EEENS0_18inequality_wrapperIN6hipcub16HIPCUB_304000_NS8EqualityEEESI_JSF_EEE10hipError_tPvRmT3_T4_T5_T6_T7_T9_mT8_P12ihipStream_tbDpT10_ENKUlT_T0_E_clISt17integral_constantIbLb1EES18_IbLb0EEEEDaS14_S15_EUlS14_E_NS1_11comp_targetILNS1_3genE0ELNS1_11target_archE4294967295ELNS1_3gpuE0ELNS1_3repE0EEENS1_30default_config_static_selectorELNS0_4arch9wavefront6targetE1EEEvT1_,comdat
.Lfunc_end60:
	.size	_ZN7rocprim17ROCPRIM_400000_NS6detail17trampoline_kernelINS0_14default_configENS1_25partition_config_selectorILNS1_17partition_subalgoE9EllbEEZZNS1_14partition_implILS5_9ELb0ES3_jPKlN6thrust23THRUST_200600_302600_NS17counting_iteratorIlNSB_11use_defaultESD_SD_EEPNS0_10empty_typeENS0_5tupleIJPlSF_EEENSH_IJSI_SG_EEENS0_18inequality_wrapperIN6hipcub16HIPCUB_304000_NS8EqualityEEESI_JSF_EEE10hipError_tPvRmT3_T4_T5_T6_T7_T9_mT8_P12ihipStream_tbDpT10_ENKUlT_T0_E_clISt17integral_constantIbLb1EES18_IbLb0EEEEDaS14_S15_EUlS14_E_NS1_11comp_targetILNS1_3genE0ELNS1_11target_archE4294967295ELNS1_3gpuE0ELNS1_3repE0EEENS1_30default_config_static_selectorELNS0_4arch9wavefront6targetE1EEEvT1_, .Lfunc_end60-_ZN7rocprim17ROCPRIM_400000_NS6detail17trampoline_kernelINS0_14default_configENS1_25partition_config_selectorILNS1_17partition_subalgoE9EllbEEZZNS1_14partition_implILS5_9ELb0ES3_jPKlN6thrust23THRUST_200600_302600_NS17counting_iteratorIlNSB_11use_defaultESD_SD_EEPNS0_10empty_typeENS0_5tupleIJPlSF_EEENSH_IJSI_SG_EEENS0_18inequality_wrapperIN6hipcub16HIPCUB_304000_NS8EqualityEEESI_JSF_EEE10hipError_tPvRmT3_T4_T5_T6_T7_T9_mT8_P12ihipStream_tbDpT10_ENKUlT_T0_E_clISt17integral_constantIbLb1EES18_IbLb0EEEEDaS14_S15_EUlS14_E_NS1_11comp_targetILNS1_3genE0ELNS1_11target_archE4294967295ELNS1_3gpuE0ELNS1_3repE0EEENS1_30default_config_static_selectorELNS0_4arch9wavefront6targetE1EEEvT1_
                                        ; -- End function
	.section	.AMDGPU.csdata,"",@progbits
; Kernel info:
; codeLenInByte = 0
; NumSgprs: 6
; NumVgprs: 0
; NumAgprs: 0
; TotalNumVgprs: 0
; ScratchSize: 0
; MemoryBound: 0
; FloatMode: 240
; IeeeMode: 1
; LDSByteSize: 0 bytes/workgroup (compile time only)
; SGPRBlocks: 0
; VGPRBlocks: 0
; NumSGPRsForWavesPerEU: 6
; NumVGPRsForWavesPerEU: 1
; AccumOffset: 4
; Occupancy: 8
; WaveLimiterHint : 0
; COMPUTE_PGM_RSRC2:SCRATCH_EN: 0
; COMPUTE_PGM_RSRC2:USER_SGPR: 2
; COMPUTE_PGM_RSRC2:TRAP_HANDLER: 0
; COMPUTE_PGM_RSRC2:TGID_X_EN: 1
; COMPUTE_PGM_RSRC2:TGID_Y_EN: 0
; COMPUTE_PGM_RSRC2:TGID_Z_EN: 0
; COMPUTE_PGM_RSRC2:TIDIG_COMP_CNT: 0
; COMPUTE_PGM_RSRC3_GFX90A:ACCUM_OFFSET: 0
; COMPUTE_PGM_RSRC3_GFX90A:TG_SPLIT: 0
	.section	.text._ZN7rocprim17ROCPRIM_400000_NS6detail17trampoline_kernelINS0_14default_configENS1_25partition_config_selectorILNS1_17partition_subalgoE9EllbEEZZNS1_14partition_implILS5_9ELb0ES3_jPKlN6thrust23THRUST_200600_302600_NS17counting_iteratorIlNSB_11use_defaultESD_SD_EEPNS0_10empty_typeENS0_5tupleIJPlSF_EEENSH_IJSI_SG_EEENS0_18inequality_wrapperIN6hipcub16HIPCUB_304000_NS8EqualityEEESI_JSF_EEE10hipError_tPvRmT3_T4_T5_T6_T7_T9_mT8_P12ihipStream_tbDpT10_ENKUlT_T0_E_clISt17integral_constantIbLb1EES18_IbLb0EEEEDaS14_S15_EUlS14_E_NS1_11comp_targetILNS1_3genE5ELNS1_11target_archE942ELNS1_3gpuE9ELNS1_3repE0EEENS1_30default_config_static_selectorELNS0_4arch9wavefront6targetE1EEEvT1_,"axG",@progbits,_ZN7rocprim17ROCPRIM_400000_NS6detail17trampoline_kernelINS0_14default_configENS1_25partition_config_selectorILNS1_17partition_subalgoE9EllbEEZZNS1_14partition_implILS5_9ELb0ES3_jPKlN6thrust23THRUST_200600_302600_NS17counting_iteratorIlNSB_11use_defaultESD_SD_EEPNS0_10empty_typeENS0_5tupleIJPlSF_EEENSH_IJSI_SG_EEENS0_18inequality_wrapperIN6hipcub16HIPCUB_304000_NS8EqualityEEESI_JSF_EEE10hipError_tPvRmT3_T4_T5_T6_T7_T9_mT8_P12ihipStream_tbDpT10_ENKUlT_T0_E_clISt17integral_constantIbLb1EES18_IbLb0EEEEDaS14_S15_EUlS14_E_NS1_11comp_targetILNS1_3genE5ELNS1_11target_archE942ELNS1_3gpuE9ELNS1_3repE0EEENS1_30default_config_static_selectorELNS0_4arch9wavefront6targetE1EEEvT1_,comdat
	.protected	_ZN7rocprim17ROCPRIM_400000_NS6detail17trampoline_kernelINS0_14default_configENS1_25partition_config_selectorILNS1_17partition_subalgoE9EllbEEZZNS1_14partition_implILS5_9ELb0ES3_jPKlN6thrust23THRUST_200600_302600_NS17counting_iteratorIlNSB_11use_defaultESD_SD_EEPNS0_10empty_typeENS0_5tupleIJPlSF_EEENSH_IJSI_SG_EEENS0_18inequality_wrapperIN6hipcub16HIPCUB_304000_NS8EqualityEEESI_JSF_EEE10hipError_tPvRmT3_T4_T5_T6_T7_T9_mT8_P12ihipStream_tbDpT10_ENKUlT_T0_E_clISt17integral_constantIbLb1EES18_IbLb0EEEEDaS14_S15_EUlS14_E_NS1_11comp_targetILNS1_3genE5ELNS1_11target_archE942ELNS1_3gpuE9ELNS1_3repE0EEENS1_30default_config_static_selectorELNS0_4arch9wavefront6targetE1EEEvT1_ ; -- Begin function _ZN7rocprim17ROCPRIM_400000_NS6detail17trampoline_kernelINS0_14default_configENS1_25partition_config_selectorILNS1_17partition_subalgoE9EllbEEZZNS1_14partition_implILS5_9ELb0ES3_jPKlN6thrust23THRUST_200600_302600_NS17counting_iteratorIlNSB_11use_defaultESD_SD_EEPNS0_10empty_typeENS0_5tupleIJPlSF_EEENSH_IJSI_SG_EEENS0_18inequality_wrapperIN6hipcub16HIPCUB_304000_NS8EqualityEEESI_JSF_EEE10hipError_tPvRmT3_T4_T5_T6_T7_T9_mT8_P12ihipStream_tbDpT10_ENKUlT_T0_E_clISt17integral_constantIbLb1EES18_IbLb0EEEEDaS14_S15_EUlS14_E_NS1_11comp_targetILNS1_3genE5ELNS1_11target_archE942ELNS1_3gpuE9ELNS1_3repE0EEENS1_30default_config_static_selectorELNS0_4arch9wavefront6targetE1EEEvT1_
	.globl	_ZN7rocprim17ROCPRIM_400000_NS6detail17trampoline_kernelINS0_14default_configENS1_25partition_config_selectorILNS1_17partition_subalgoE9EllbEEZZNS1_14partition_implILS5_9ELb0ES3_jPKlN6thrust23THRUST_200600_302600_NS17counting_iteratorIlNSB_11use_defaultESD_SD_EEPNS0_10empty_typeENS0_5tupleIJPlSF_EEENSH_IJSI_SG_EEENS0_18inequality_wrapperIN6hipcub16HIPCUB_304000_NS8EqualityEEESI_JSF_EEE10hipError_tPvRmT3_T4_T5_T6_T7_T9_mT8_P12ihipStream_tbDpT10_ENKUlT_T0_E_clISt17integral_constantIbLb1EES18_IbLb0EEEEDaS14_S15_EUlS14_E_NS1_11comp_targetILNS1_3genE5ELNS1_11target_archE942ELNS1_3gpuE9ELNS1_3repE0EEENS1_30default_config_static_selectorELNS0_4arch9wavefront6targetE1EEEvT1_
	.p2align	8
	.type	_ZN7rocprim17ROCPRIM_400000_NS6detail17trampoline_kernelINS0_14default_configENS1_25partition_config_selectorILNS1_17partition_subalgoE9EllbEEZZNS1_14partition_implILS5_9ELb0ES3_jPKlN6thrust23THRUST_200600_302600_NS17counting_iteratorIlNSB_11use_defaultESD_SD_EEPNS0_10empty_typeENS0_5tupleIJPlSF_EEENSH_IJSI_SG_EEENS0_18inequality_wrapperIN6hipcub16HIPCUB_304000_NS8EqualityEEESI_JSF_EEE10hipError_tPvRmT3_T4_T5_T6_T7_T9_mT8_P12ihipStream_tbDpT10_ENKUlT_T0_E_clISt17integral_constantIbLb1EES18_IbLb0EEEEDaS14_S15_EUlS14_E_NS1_11comp_targetILNS1_3genE5ELNS1_11target_archE942ELNS1_3gpuE9ELNS1_3repE0EEENS1_30default_config_static_selectorELNS0_4arch9wavefront6targetE1EEEvT1_,@function
_ZN7rocprim17ROCPRIM_400000_NS6detail17trampoline_kernelINS0_14default_configENS1_25partition_config_selectorILNS1_17partition_subalgoE9EllbEEZZNS1_14partition_implILS5_9ELb0ES3_jPKlN6thrust23THRUST_200600_302600_NS17counting_iteratorIlNSB_11use_defaultESD_SD_EEPNS0_10empty_typeENS0_5tupleIJPlSF_EEENSH_IJSI_SG_EEENS0_18inequality_wrapperIN6hipcub16HIPCUB_304000_NS8EqualityEEESI_JSF_EEE10hipError_tPvRmT3_T4_T5_T6_T7_T9_mT8_P12ihipStream_tbDpT10_ENKUlT_T0_E_clISt17integral_constantIbLb1EES18_IbLb0EEEEDaS14_S15_EUlS14_E_NS1_11comp_targetILNS1_3genE5ELNS1_11target_archE942ELNS1_3gpuE9ELNS1_3repE0EEENS1_30default_config_static_selectorELNS0_4arch9wavefront6targetE1EEEvT1_: ; @_ZN7rocprim17ROCPRIM_400000_NS6detail17trampoline_kernelINS0_14default_configENS1_25partition_config_selectorILNS1_17partition_subalgoE9EllbEEZZNS1_14partition_implILS5_9ELb0ES3_jPKlN6thrust23THRUST_200600_302600_NS17counting_iteratorIlNSB_11use_defaultESD_SD_EEPNS0_10empty_typeENS0_5tupleIJPlSF_EEENSH_IJSI_SG_EEENS0_18inequality_wrapperIN6hipcub16HIPCUB_304000_NS8EqualityEEESI_JSF_EEE10hipError_tPvRmT3_T4_T5_T6_T7_T9_mT8_P12ihipStream_tbDpT10_ENKUlT_T0_E_clISt17integral_constantIbLb1EES18_IbLb0EEEEDaS14_S15_EUlS14_E_NS1_11comp_targetILNS1_3genE5ELNS1_11target_archE942ELNS1_3gpuE9ELNS1_3repE0EEENS1_30default_config_static_selectorELNS0_4arch9wavefront6targetE1EEEvT1_
; %bb.0:
	s_load_dwordx2 s[12:13], s[0:1], 0x50
	s_load_dwordx4 s[20:23], s[0:1], 0x40
	s_load_dwordx4 s[4:7], s[0:1], 0x8
	s_load_dwordx2 s[8:9], s[0:1], 0x18
	s_load_dword s3, s[0:1], 0x68
	s_waitcnt lgkmcnt(0)
	v_mov_b32_e32 v3, s13
	v_mov_b32_e32 v2, s12
	s_lshl_b64 s[10:11], s[6:7], 3
	s_add_u32 s16, s4, s10
	s_mul_i32 s4, s3, 0xe00
	s_addc_u32 s17, s5, s11
	s_add_i32 s13, s3, -1
	s_add_i32 s3, s4, s6
	s_sub_i32 s3, s12, s3
	s_add_u32 s4, s6, s4
	s_addc_u32 s5, s7, 0
	s_cmp_eq_u32 s2, s13
	s_load_dwordx2 s[18:19], s[22:23], 0x0
	v_cmp_ge_u64_e32 vcc, s[4:5], v[2:3]
	s_cselect_b64 s[22:23], -1, 0
	s_mul_i32 s10, s2, 0xe00
	s_mov_b32 s11, 0
	s_and_b64 s[14:15], s[22:23], vcc
	s_xor_b64 s[28:29], s[14:15], -1
	s_lshl_b64 s[4:5], s[10:11], 3
	s_add_u32 s4, s16, s4
	s_mov_b64 s[12:13], -1
	s_addc_u32 s5, s17, s5
	s_and_b64 vcc, exec, s[28:29]
	s_cbranch_vccz .LBB61_2
; %bb.1:
	v_mov_b32_e32 v1, 0
	v_lshlrev_b32_e32 v2, 3, v0
	v_mov_b32_e32 v3, v1
	v_lshl_add_u64 v[4:5], s[4:5], 0, v[2:3]
	v_add_co_u32_e32 v8, vcc, 0x1000, v4
	global_load_dwordx2 v[6:7], v2, s[4:5]
	s_nop 0
	v_addc_co_u32_e32 v9, vcc, 0, v5, vcc
	v_add_co_u32_e32 v10, vcc, 0x2000, v4
	s_mov_b64 s[12:13], 0
	s_nop 0
	v_addc_co_u32_e32 v11, vcc, 0, v5, vcc
	v_add_co_u32_e32 v12, vcc, 0x3000, v4
	s_nop 1
	v_addc_co_u32_e32 v13, vcc, 0, v5, vcc
	v_add_co_u32_e32 v14, vcc, 0x4000, v4
	s_nop 1
	v_addc_co_u32_e32 v15, vcc, 0, v5, vcc
	global_load_dwordx2 v[16:17], v[8:9], off
	global_load_dwordx2 v[18:19], v[10:11], off
	global_load_dwordx2 v[20:21], v[12:13], off
	global_load_dwordx2 v[22:23], v[14:15], off
	v_add_co_u32_e32 v8, vcc, 0x5000, v4
	s_nop 1
	v_addc_co_u32_e32 v9, vcc, 0, v5, vcc
	v_add_co_u32_e32 v4, vcc, 0x6000, v4
	global_load_dwordx2 v[8:9], v[8:9], off
	s_nop 0
	v_addc_co_u32_e32 v5, vcc, 0, v5, vcc
	global_load_dwordx2 v[4:5], v[4:5], off
	s_waitcnt vmcnt(5)
	ds_write2st64_b64 v2, v[6:7], v[16:17] offset1:8
	s_waitcnt vmcnt(3)
	ds_write2st64_b64 v2, v[18:19], v[20:21] offset0:16 offset1:24
	s_waitcnt vmcnt(1)
	ds_write2st64_b64 v2, v[22:23], v[8:9] offset0:32 offset1:40
	s_waitcnt vmcnt(0)
	ds_write_b64 v2, v[4:5] offset:24576
	s_waitcnt lgkmcnt(0)
	s_barrier
.LBB61_2:
	s_load_dwordx2 s[30:31], s[0:1], 0x60
	s_andn2_b64 vcc, exec, s[12:13]
	s_addk_i32 s3, 0xe00
	s_cbranch_vccnz .LBB61_18
; %bb.3:
	v_cmp_gt_u32_e32 vcc, s3, v0
                                        ; implicit-def: $vgpr2_vgpr3_vgpr4_vgpr5_vgpr6_vgpr7_vgpr8_vgpr9_vgpr10_vgpr11_vgpr12_vgpr13_vgpr14_vgpr15_vgpr16_vgpr17
	s_and_saveexec_b64 s[12:13], vcc
	s_cbranch_execz .LBB61_5
; %bb.4:
	v_lshlrev_b32_e32 v1, 3, v0
	global_load_dwordx2 v[2:3], v1, s[4:5]
.LBB61_5:
	s_or_b64 exec, exec, s[12:13]
	v_or_b32_e32 v1, 0x200, v0
	v_cmp_gt_u32_e32 vcc, s3, v1
	s_and_saveexec_b64 s[12:13], vcc
	s_cbranch_execz .LBB61_7
; %bb.6:
	v_lshlrev_b32_e32 v1, 3, v1
	global_load_dwordx2 v[4:5], v1, s[4:5]
.LBB61_7:
	s_or_b64 exec, exec, s[12:13]
	v_or_b32_e32 v1, 0x400, v0
	v_cmp_gt_u32_e32 vcc, s3, v1
	;; [unrolled: 9-line block ×6, first 2 shown]
	s_and_saveexec_b64 s[12:13], vcc
	s_cbranch_execz .LBB61_17
; %bb.16:
	v_lshlrev_b32_e32 v1, 3, v1
	global_load_dwordx2 v[14:15], v1, s[4:5]
.LBB61_17:
	s_or_b64 exec, exec, s[12:13]
	v_lshlrev_b32_e32 v1, 3, v0
	s_waitcnt vmcnt(0)
	ds_write2st64_b64 v1, v[2:3], v[4:5] offset1:8
	ds_write2st64_b64 v1, v[6:7], v[8:9] offset0:16 offset1:24
	ds_write2st64_b64 v1, v[10:11], v[12:13] offset0:32 offset1:40
	ds_write_b64 v1, v[14:15] offset:24576
	v_mov_b32_e32 v1, 0
	s_waitcnt lgkmcnt(0)
	s_barrier
.LBB61_18:
	v_mul_u32_u24_e32 v32, 7, v0
	v_lshlrev_b32_e32 v40, 3, v32
	s_waitcnt lgkmcnt(0)
	ds_read2_b64 v[22:25], v40 offset1:1
	ds_read2_b64 v[18:21], v40 offset0:2 offset1:3
	ds_read2_b64 v[14:17], v40 offset0:4 offset1:5
	ds_read_b64 v[28:29], v40 offset:48
	s_load_dwordx4 s[24:27], s[0:1], 0x28
	s_add_u32 s0, s6, s10
	s_addc_u32 s1, s7, 0
	s_add_u32 s0, s0, s8
	s_addc_u32 s1, s1, s9
	v_lshl_add_u64 v[2:3], v[0:1], 0, s[0:1]
	s_mov_b64 s[8:9], -1
	s_and_b64 vcc, exec, s[28:29]
	s_waitcnt lgkmcnt(0)
	s_barrier
	s_cbranch_vccz .LBB61_20
; %bb.19:
	s_mov_b64 s[8:9], 0x200
	v_lshl_add_u64 v[4:5], v[2:3], 0, s[8:9]
	s_mov_b64 s[8:9], 0x400
	v_lshl_add_u64 v[6:7], v[2:3], 0, s[8:9]
	;; [unrolled: 2-line block ×5, first 2 shown]
	s_mov_b64 s[8:9], 0xc00
	v_lshlrev_b32_e32 v1, 3, v0
	v_lshl_add_u64 v[26:27], v[2:3], 0, s[8:9]
	ds_write2st64_b64 v1, v[2:3], v[4:5] offset1:8
	ds_write2st64_b64 v1, v[6:7], v[8:9] offset0:16 offset1:24
	ds_write2st64_b64 v1, v[10:11], v[12:13] offset0:32 offset1:40
	ds_write_b64 v1, v[26:27] offset:24576
	s_waitcnt lgkmcnt(0)
	s_barrier
	s_mov_b64 s[8:9], 0
.LBB61_20:
	s_andn2_b64 vcc, exec, s[8:9]
	s_cbranch_vccnz .LBB61_22
; %bb.21:
	v_or_b32_e32 v4, 0x200, v0
	v_mov_b32_e32 v5, 0
	v_lshl_add_u64 v[6:7], s[0:1], 0, v[4:5]
	v_or_b32_e32 v4, 0x400, v0
	v_lshl_add_u64 v[8:9], s[0:1], 0, v[4:5]
	v_or_b32_e32 v4, 0x600, v0
	v_lshl_add_u64 v[10:11], s[0:1], 0, v[4:5]
	v_or_b32_e32 v4, 0x800, v0
	v_lshl_add_u64 v[12:13], s[0:1], 0, v[4:5]
	v_or_b32_e32 v4, 0xa00, v0
	v_lshl_add_u64 v[26:27], s[0:1], 0, v[4:5]
	v_or_b32_e32 v4, 0xc00, v0
	v_lshl_add_u64 v[4:5], s[0:1], 0, v[4:5]
	s_movk_i32 s0, 0xffd0
	v_mad_i32_i24 v1, v0, s0, v40
	ds_write2st64_b64 v1, v[2:3], v[6:7] offset1:8
	ds_write2st64_b64 v1, v[8:9], v[10:11] offset0:16 offset1:24
	ds_write2st64_b64 v1, v[12:13], v[26:27] offset0:32 offset1:40
	ds_write_b64 v1, v[4:5] offset:24576
	s_waitcnt lgkmcnt(0)
	s_barrier
.LBB61_22:
	ds_read2_b64 v[10:13], v40 offset1:1
	ds_read2_b64 v[6:9], v40 offset0:2 offset1:3
	ds_read2_b64 v[2:5], v40 offset0:4 offset1:5
	ds_read_b64 v[26:27], v40 offset:48
	s_cmp_lg_u32 s2, 0
	s_cselect_b64 s[34:35], -1, 0
	s_cmp_lg_u64 s[6:7], 0
	s_cselect_b64 s[0:1], -1, 0
	s_or_b64 s[0:1], s[34:35], s[0:1]
	v_add_u32_e32 v35, 1, v32
	v_add_u32_e32 v1, 2, v32
	;; [unrolled: 1-line block ×6, first 2 shown]
	s_mov_b64 s[16:17], 0
	s_and_b64 vcc, exec, s[0:1]
	s_waitcnt lgkmcnt(0)
	s_barrier
	s_cbranch_vccz .LBB61_27
; %bb.23:
	s_add_u32 s0, s4, -8
	s_addc_u32 s1, s5, -1
	s_load_dwordx2 s[4:5], s[0:1], 0x0
	v_lshlrev_b32_e32 v43, 3, v0
	s_and_b64 vcc, exec, s[28:29]
	ds_write_b64 v43, v[28:29]
	s_cbranch_vccz .LBB61_29
; %bb.24:
	v_cmp_ne_u32_e32 vcc, 0, v0
	s_waitcnt lgkmcnt(0)
	v_mov_b64_e32 v[30:31], s[4:5]
	s_barrier
	s_and_saveexec_b64 s[0:1], vcc
	s_cbranch_execz .LBB61_26
; %bb.25:
	v_add_u32_e32 v30, -8, v43
	ds_read_b64 v[30:31], v30
.LBB61_26:
	s_or_b64 exec, exec, s[0:1]
	v_cmp_ne_u64_e32 vcc, v[16:17], v[28:29]
	s_waitcnt lgkmcnt(0)
	v_cmp_ne_u64_e64 s[0:1], v[30:31], v[22:23]
	v_cndmask_b32_e64 v41, 0, 1, vcc
	v_cmp_ne_u64_e32 vcc, v[14:15], v[16:17]
	s_nop 1
	v_cndmask_b32_e64 v38, 0, 1, vcc
	v_cmp_ne_u64_e32 vcc, v[20:21], v[14:15]
	s_nop 1
	v_cndmask_b32_e64 v39, 0, 1, vcc
	v_cmp_ne_u64_e32 vcc, v[18:19], v[20:21]
	s_nop 1
	v_cndmask_b32_e64 v42, 0, 1, vcc
	v_cmp_ne_u64_e32 vcc, v[24:25], v[18:19]
	v_lshlrev_b16_e32 v30, 8, v42
	s_nop 0
	v_cndmask_b32_e64 v44, 0, 1, vcc
	v_cmp_ne_u64_e32 vcc, v[22:23], v[24:25]
	v_or_b32_sdwa v30, v44, v30 dst_sel:WORD_1 dst_unused:UNUSED_PAD src0_sel:DWORD src1_sel:DWORD
	s_nop 0
	v_cndmask_b32_e64 v45, 0, 1, vcc
	v_lshlrev_b16_e32 v31, 8, v45
	v_or_b32_e32 v42, v31, v30
	s_branch .LBB61_33
.LBB61_27:
                                        ; implicit-def: $sgpr0_sgpr1
                                        ; implicit-def: $vgpr41
                                        ; implicit-def: $vgpr38
                                        ; implicit-def: $vgpr39
                                        ; implicit-def: $vgpr42
	s_branch .LBB61_34
.LBB61_28:
                                        ; implicit-def: $vgpr30_vgpr31
	s_and_saveexec_b64 s[4:5], s[16:17]
	s_cbranch_execnz .LBB61_42
	s_branch .LBB61_43
.LBB61_29:
                                        ; implicit-def: $sgpr0_sgpr1
                                        ; implicit-def: $vgpr41
                                        ; implicit-def: $vgpr38
                                        ; implicit-def: $vgpr39
                                        ; implicit-def: $vgpr42
	s_cbranch_execz .LBB61_33
; %bb.30:
	v_cmp_ne_u32_e32 vcc, 0, v0
	s_waitcnt lgkmcnt(0)
	v_mov_b64_e32 v[30:31], s[4:5]
	s_barrier
	s_and_saveexec_b64 s[0:1], vcc
	s_cbranch_execz .LBB61_32
; %bb.31:
	v_add_u32_e32 v30, -8, v43
	ds_read_b64 v[30:31], v30
.LBB61_32:
	s_or_b64 exec, exec, s[0:1]
	v_cmp_gt_u32_e32 vcc, s3, v34
	v_cmp_ne_u64_e64 s[0:1], v[16:17], v[28:29]
	s_and_b64 s[0:1], vcc, s[0:1]
	v_cmp_gt_u32_e32 vcc, s3, v37
	v_cndmask_b32_e64 v41, 0, 1, s[0:1]
	v_cmp_ne_u64_e64 s[0:1], v[14:15], v[16:17]
	s_and_b64 s[0:1], vcc, s[0:1]
	v_cmp_gt_u32_e32 vcc, s3, v33
	v_cndmask_b32_e64 v38, 0, 1, s[0:1]
	;; [unrolled: 4-line block ×6, first 2 shown]
	s_waitcnt lgkmcnt(0)
	v_cmp_ne_u64_e64 s[0:1], v[30:31], v[22:23]
	v_lshlrev_b16_e32 v30, 8, v42
	v_or_b32_sdwa v30, v43, v30 dst_sel:WORD_1 dst_unused:UNUSED_PAD src0_sel:DWORD src1_sel:DWORD
	v_lshlrev_b16_e32 v31, 8, v44
	s_and_b64 s[0:1], vcc, s[0:1]
	v_or_b32_e32 v42, v31, v30
.LBB61_33:
	s_waitcnt lgkmcnt(0)
	s_mov_b64 s[16:17], -1
	s_cbranch_execnz .LBB61_28
.LBB61_34:
	s_movk_i32 s0, 0xffd0
	v_mad_i32_i24 v40, v0, s0, v40
	s_and_b64 vcc, exec, s[28:29]
	v_cmp_ne_u64_e64 s[0:1], v[16:17], v[28:29]
	v_cmp_ne_u64_e64 s[12:13], v[14:15], v[16:17]
	;; [unrolled: 1-line block ×6, first 2 shown]
	ds_write_b64 v40, v[28:29]
	s_cbranch_vccz .LBB61_38
; %bb.35:
	v_cndmask_b32_e64 v38, 0, 1, s[12:13]
	v_cndmask_b32_e64 v30, 0, 1, s[6:7]
	v_cndmask_b32_e64 v39, 0, 1, s[4:5]
	v_cndmask_b32_e64 v42, 0, 1, s[8:9]
	v_cndmask_b32_e64 v43, 0, 1, s[10:11]
	v_lshlrev_b16_e32 v31, 8, v38
	v_lshlrev_b16_e32 v30, 8, v30
	v_or_b32_e32 v31, v39, v31
	v_or_b32_sdwa v30, v42, v30 dst_sel:WORD_1 dst_unused:UNUSED_PAD src0_sel:DWORD src1_sel:DWORD
	v_lshlrev_b16_e32 v42, 8, v43
	v_and_b32_e32 v31, 0xffff, v31
	v_cndmask_b32_e64 v41, 0, 1, s[0:1]
	v_or_b32_e32 v42, 1, v42
	v_lshl_or_b32 v31, v41, 16, v31
	v_or_b32_sdwa v30, v42, v30 dst_sel:DWORD dst_unused:UNUSED_PAD src0_sel:WORD_0 src1_sel:DWORD
	v_cmp_ne_u32_e32 vcc, 0, v0
	s_waitcnt lgkmcnt(0)
	s_barrier
	s_waitcnt lgkmcnt(0)
                                        ; implicit-def: $sgpr0_sgpr1
                                        ; implicit-def: $vgpr42
	s_and_saveexec_b64 s[4:5], vcc
	s_xor_b64 s[4:5], exec, s[4:5]
	s_cbranch_execz .LBB61_37
; %bb.36:
	v_add_u32_e32 v31, -8, v40
	ds_read_b64 v[44:45], v31
	s_mov_b32 s0, 0x3020104
	v_perm_b32 v42, v30, v30, s0
	s_or_b64 s[16:17], s[16:17], exec
                                        ; implicit-def: $vgpr30_vgpr31
	s_waitcnt lgkmcnt(0)
	v_cmp_ne_u64_e32 vcc, v[44:45], v[22:23]
	s_and_b64 s[0:1], vcc, exec
.LBB61_37:
	s_or_b64 exec, exec, s[4:5]
	s_branch .LBB61_41
.LBB61_38:
                                        ; implicit-def: $sgpr0_sgpr1
                                        ; implicit-def: $vgpr41
                                        ; implicit-def: $vgpr38
                                        ; implicit-def: $vgpr39
                                        ; implicit-def: $vgpr42
                                        ; implicit-def: $vgpr30_vgpr31
	s_cbranch_execz .LBB61_41
; %bb.39:
	v_cmp_gt_u32_e64 s[4:5], s3, v37
	v_cmp_ne_u64_e64 s[6:7], v[14:15], v[16:17]
	s_and_b64 s[4:5], s[4:5], s[6:7]
	v_cndmask_b32_e64 v38, 0, 1, s[4:5]
	v_cmp_gt_u32_e64 s[4:5], s3, v33
	v_cmp_ne_u64_e64 s[6:7], v[20:21], v[14:15]
	s_and_b64 s[4:5], s[4:5], s[6:7]
	v_cndmask_b32_e64 v39, 0, 1, s[4:5]
	;; [unrolled: 4-line block ×4, first 2 shown]
	v_cmp_gt_u32_e64 s[4:5], s3, v35
	v_cmp_ne_u64_e64 s[6:7], v[22:23], v[24:25]
	s_and_b64 s[4:5], s[4:5], s[6:7]
	v_cmp_gt_u32_e32 vcc, s3, v34
	v_cmp_ne_u64_e64 s[0:1], v[16:17], v[28:29]
	v_cndmask_b32_e64 v43, 0, 1, s[4:5]
	v_lshlrev_b16_e32 v31, 8, v38
	v_lshlrev_b16_e32 v30, 8, v30
	v_or_b32_e32 v31, v39, v31
	s_and_b64 s[0:1], vcc, s[0:1]
	v_or_b32_sdwa v30, v42, v30 dst_sel:WORD_1 dst_unused:UNUSED_PAD src0_sel:DWORD src1_sel:DWORD
	v_lshlrev_b16_e32 v42, 8, v43
	v_and_b32_e32 v31, 0xffff, v31
	v_cndmask_b32_e64 v41, 0, 1, s[0:1]
	v_or_b32_e32 v42, 1, v42
	v_lshl_or_b32 v31, v41, 16, v31
	v_or_b32_sdwa v30, v42, v30 dst_sel:DWORD dst_unused:UNUSED_PAD src0_sel:WORD_0 src1_sel:DWORD
	v_cmp_ne_u32_e32 vcc, 0, v0
	s_waitcnt lgkmcnt(0)
	s_barrier
	s_waitcnt lgkmcnt(0)
                                        ; implicit-def: $sgpr0_sgpr1
                                        ; implicit-def: $vgpr42
	s_and_saveexec_b64 s[4:5], vcc
	s_cbranch_execz .LBB61_173
; %bb.40:
	v_add_u32_e32 v31, -8, v40
	ds_read_b64 v[44:45], v31
	s_mov_b32 s0, 0x3020104
	v_cmp_gt_u32_e32 vcc, s3, v32
	v_perm_b32 v42, v30, v30, s0
	s_or_b64 s[16:17], s[16:17], exec
	s_waitcnt lgkmcnt(0)
	v_cmp_ne_u64_e64 s[0:1], v[44:45], v[22:23]
	s_and_b64 s[0:1], vcc, s[0:1]
	s_and_b64 s[0:1], s[0:1], exec
                                        ; implicit-def: $vgpr30_vgpr31
	s_or_b64 exec, exec, s[4:5]
.LBB61_41:
	s_and_saveexec_b64 s[4:5], s[16:17]
	s_cbranch_execz .LBB61_43
.LBB61_42:
	v_lshlrev_b16_e32 v31, 8, v38
	v_and_b32_e32 v38, 0xff, v41
	v_or_b32_sdwa v31, v39, v31 dst_sel:DWORD dst_unused:UNUSED_PAD src0_sel:BYTE_0 src1_sel:DWORD
	v_lshlrev_b32_e32 v38, 16, v38
	v_cndmask_b32_e64 v30, 0, 1, s[0:1]
	s_movk_i32 s0, 0xff
	v_or_b32_sdwa v31, v31, v38 dst_sel:DWORD dst_unused:UNUSED_PAD src0_sel:WORD_0 src1_sel:DWORD
	v_lshrrev_b32_e32 v38, 24, v42
	v_lshlrev_b16_e32 v38, 8, v38
	v_and_b32_sdwa v39, v42, s0 dst_sel:DWORD dst_unused:UNUSED_PAD src0_sel:WORD_1 src1_sel:DWORD
	v_or_b32_sdwa v38, v39, v38 dst_sel:WORD_1 dst_unused:UNUSED_PAD src0_sel:DWORD src1_sel:DWORD
	v_mov_b32_e32 v39, 8
	v_lshrrev_b32_sdwa v39, v39, v42 dst_sel:BYTE_1 dst_unused:UNUSED_PAD src0_sel:DWORD src1_sel:DWORD
	s_nop 0
	v_or_b32_e32 v30, v30, v39
	v_or_b32_sdwa v30, v30, v38 dst_sel:DWORD dst_unused:UNUSED_PAD src0_sel:WORD_0 src1_sel:DWORD
.LBB61_43:
	s_or_b64 exec, exec, s[4:5]
	s_andn2_b64 vcc, exec, s[14:15]
	s_cbranch_vccnz .LBB61_45
; %bb.44:
	v_and_b32_e32 v38, 0xffff0000, v30
	v_cmp_gt_u32_e32 vcc, s3, v32
	s_mov_b32 s0, 0x40c0100
	s_nop 0
	v_cndmask_b32_e32 v32, v38, v30, vcc
	v_and_b32_e32 v32, 0xffff00ff, v32
	v_cmp_gt_u32_e32 vcc, s3, v35
	s_nop 1
	v_cndmask_b32_e32 v32, v32, v30, vcc
	v_lshrrev_b32_e32 v35, 24, v32
	v_perm_b32 v32, v35, v32, s0
	v_cmp_gt_u32_e32 vcc, s3, v1
	s_nop 1
	v_cndmask_b32_e32 v1, v32, v30, vcc
	v_and_b32_e32 v1, 0xffffff, v1
	v_cmp_gt_u32_e32 vcc, s3, v36
	v_and_b32_e32 v32, 0xffffff00, v31
	s_nop 0
	v_cndmask_b32_e32 v1, v1, v30, vcc
	v_cmp_gt_u32_e32 vcc, s3, v33
	s_nop 1
	v_cndmask_b32_e32 v32, v32, v31, vcc
	v_and_b32_e32 v32, 0xffff00ff, v32
	v_cndmask_b32_e32 v1, v1, v30, vcc
	v_cmp_gt_u32_e32 vcc, s3, v37
	s_nop 1
	v_cndmask_b32_e32 v32, v32, v31, vcc
	v_lshrrev_b32_e32 v33, 24, v32
	v_cndmask_b32_e32 v1, v1, v30, vcc
	v_perm_b32 v32, v33, v32, s0
	v_cmp_gt_u32_e32 vcc, s3, v34
	s_mov_b32 s0, 0x3020104
	s_nop 0
	v_cndmask_b32_e32 v1, v1, v30, vcc
	v_cndmask_b32_e32 v30, v32, v31, vcc
	v_mov_b32_e32 v31, 8
	v_lshrrev_b32_sdwa v31, v31, v30 dst_sel:BYTE_1 dst_unused:UNUSED_PAD src0_sel:DWORD src1_sel:DWORD
	s_nop 0
	v_or_b32_sdwa v31, v30, v31 dst_sel:DWORD dst_unused:UNUSED_PAD src0_sel:BYTE_0 src1_sel:DWORD
	v_and_b32_e32 v31, 0xffff, v31
	v_bfe_u32 v30, v30, 16, 8
	v_lshl_or_b32 v31, v30, 16, v31
	v_perm_b32 v30, v1, v1, s0
.LBB61_45:
	v_and_b32_e32 v1, 0xff, v30
	v_bfe_u32 v43, v30, 8, 8
	v_bfe_u32 v45, v30, 16, 8
	v_alignbit_b32 v32, v31, v30, 24
	v_and_b32_e32 v47, 0xff, v32
	v_and_b32_e32 v48, 0xff, v31
	v_add3_u32 v33, v43, v1, v45
	v_bfe_u32 v49, v31, 8, 8
	v_bfe_u32 v32, v31, 16, 8
	v_add3_u32 v33, v33, v47, v48
	v_add3_u32 v52, v33, v49, v32
	v_mbcnt_lo_u32_b32 v32, -1, 0
	v_mbcnt_hi_u32_b32 v50, -1, v32
	v_and_b32_e32 v32, 15, v50
	v_cmp_eq_u32_e64 s[12:13], 0, v32
	v_cmp_lt_u32_e64 s[10:11], 1, v32
	v_cmp_lt_u32_e64 s[8:9], 3, v32
	;; [unrolled: 1-line block ×3, first 2 shown]
	v_and_b32_e32 v32, 16, v50
	v_cmp_eq_u32_e64 s[4:5], 0, v32
	v_or_b32_e32 v32, 63, v0
	v_cmp_lt_u32_e64 s[0:1], 31, v50
	v_lshrrev_b32_e32 v51, 6, v0
	v_cmp_eq_u32_e64 s[16:17], v32, v0
	s_and_b64 vcc, exec, s[34:35]
	s_waitcnt lgkmcnt(0)
	s_barrier
	s_cbranch_vccz .LBB61_76
; %bb.46:
	v_mov_b32_dpp v32, v52 row_shr:1 row_mask:0xf bank_mask:0xf
	v_cndmask_b32_e64 v32, v32, 0, s[12:13]
	v_add_u32_e32 v32, v32, v52
	s_nop 1
	v_mov_b32_dpp v33, v32 row_shr:2 row_mask:0xf bank_mask:0xf
	v_cndmask_b32_e64 v33, 0, v33, s[10:11]
	v_add_u32_e32 v32, v32, v33
	s_nop 1
	;; [unrolled: 4-line block ×4, first 2 shown]
	v_mov_b32_dpp v33, v32 row_bcast:15 row_mask:0xf bank_mask:0xf
	v_cndmask_b32_e64 v33, v33, 0, s[4:5]
	v_add_u32_e32 v32, v32, v33
	s_nop 1
	v_mov_b32_dpp v33, v32 row_bcast:31 row_mask:0xf bank_mask:0xf
	v_cndmask_b32_e64 v33, 0, v33, s[0:1]
	v_add_u32_e32 v32, v32, v33
	s_and_saveexec_b64 s[14:15], s[16:17]
	s_cbranch_execz .LBB61_48
; %bb.47:
	v_lshlrev_b32_e32 v33, 2, v51
	ds_write_b32 v33, v32
.LBB61_48:
	s_or_b64 exec, exec, s[14:15]
	v_cmp_gt_u32_e32 vcc, 8, v0
	s_waitcnt lgkmcnt(0)
	s_barrier
	s_and_saveexec_b64 s[14:15], vcc
	s_cbranch_execz .LBB61_50
; %bb.49:
	v_lshlrev_b32_e32 v33, 2, v0
	ds_read_b32 v34, v33
	v_and_b32_e32 v35, 7, v50
	v_cmp_ne_u32_e32 vcc, 0, v35
	s_waitcnt lgkmcnt(0)
	v_mov_b32_dpp v36, v34 row_shr:1 row_mask:0xf bank_mask:0xf
	v_cndmask_b32_e32 v36, 0, v36, vcc
	v_add_u32_e32 v34, v36, v34
	v_cmp_lt_u32_e32 vcc, 1, v35
	s_nop 0
	v_mov_b32_dpp v36, v34 row_shr:2 row_mask:0xf bank_mask:0xf
	v_cndmask_b32_e32 v36, 0, v36, vcc
	v_add_u32_e32 v34, v34, v36
	v_cmp_lt_u32_e32 vcc, 3, v35
	s_nop 0
	v_mov_b32_dpp v36, v34 row_shr:4 row_mask:0xf bank_mask:0xf
	v_cndmask_b32_e32 v35, 0, v36, vcc
	v_add_u32_e32 v34, v34, v35
	ds_write_b32 v33, v34
.LBB61_50:
	s_or_b64 exec, exec, s[14:15]
	v_cmp_gt_u32_e32 vcc, 64, v0
	v_cmp_lt_u32_e64 s[14:15], 63, v0
	s_waitcnt lgkmcnt(0)
	s_barrier
	s_waitcnt lgkmcnt(0)
                                        ; implicit-def: $vgpr42
	s_and_saveexec_b64 s[34:35], s[14:15]
	s_cbranch_execz .LBB61_52
; %bb.51:
	v_lshl_add_u32 v33, v51, 2, -4
	ds_read_b32 v42, v33
	s_waitcnt lgkmcnt(0)
	v_add_u32_e32 v32, v42, v32
.LBB61_52:
	s_or_b64 exec, exec, s[34:35]
	v_add_u32_e32 v33, -1, v50
	v_and_b32_e32 v34, 64, v50
	v_cmp_lt_i32_e64 s[14:15], v33, v34
	s_nop 1
	v_cndmask_b32_e64 v33, v33, v50, s[14:15]
	v_lshlrev_b32_e32 v33, 2, v33
	ds_bpermute_b32 v44, v33, v32
	v_cmp_eq_u32_e64 s[14:15], 0, v50
	s_and_saveexec_b64 s[34:35], vcc
	s_cbranch_execz .LBB61_75
; %bb.53:
	v_mov_b32_e32 v41, 0
	ds_read_b32 v32, v41 offset:28
	s_and_saveexec_b64 s[36:37], s[14:15]
	s_cbranch_execz .LBB61_55
; %bb.54:
	s_add_i32 s38, s2, 64
	s_mov_b32 s39, 0
	s_lshl_b64 s[38:39], s[38:39], 3
	s_add_u32 s38, s30, s38
	v_mov_b32_e32 v33, 1
	s_addc_u32 s39, s31, s39
	s_waitcnt lgkmcnt(0)
	global_store_dwordx2 v41, v[32:33], s[38:39] sc1
.LBB61_55:
	s_or_b64 exec, exec, s[36:37]
	v_xad_u32 v34, v50, -1, s2
	v_add_u32_e32 v40, 64, v34
	v_lshl_add_u64 v[36:37], v[40:41], 3, s[30:31]
	global_load_dwordx2 v[38:39], v[36:37], off sc1
	s_waitcnt vmcnt(0)
	v_cmp_eq_u16_sdwa s[38:39], v39, v41 src0_sel:BYTE_0 src1_sel:DWORD
	s_and_saveexec_b64 s[36:37], s[38:39]
	s_cbranch_execz .LBB61_61
; %bb.56:
	s_mov_b32 s3, 1
	s_mov_b64 s[38:39], 0
	v_mov_b32_e32 v33, 0
.LBB61_57:                              ; =>This Loop Header: Depth=1
                                        ;     Child Loop BB61_58 Depth 2
	s_max_u32 s33, s3, 1
.LBB61_58:                              ;   Parent Loop BB61_57 Depth=1
                                        ; =>  This Inner Loop Header: Depth=2
	s_add_i32 s33, s33, -1
	s_cmp_eq_u32 s33, 0
	s_sleep 1
	s_cbranch_scc0 .LBB61_58
; %bb.59:                               ;   in Loop: Header=BB61_57 Depth=1
	global_load_dwordx2 v[38:39], v[36:37], off sc1
	s_cmp_lt_u32 s3, 32
	s_cselect_b64 s[40:41], -1, 0
	s_cmp_lg_u64 s[40:41], 0
	s_addc_u32 s3, s3, 0
	s_waitcnt vmcnt(0)
	v_cmp_ne_u16_sdwa s[40:41], v39, v33 src0_sel:BYTE_0 src1_sel:DWORD
	s_or_b64 s[38:39], s[40:41], s[38:39]
	s_andn2_b64 exec, exec, s[38:39]
	s_cbranch_execnz .LBB61_57
; %bb.60:
	s_or_b64 exec, exec, s[38:39]
.LBB61_61:
	s_or_b64 exec, exec, s[36:37]
	v_and_b32_e32 v53, 63, v50
	v_mov_b32_e32 v46, 2
	v_cmp_ne_u32_e32 vcc, 63, v53
	v_cmp_eq_u16_sdwa s[36:37], v39, v46 src0_sel:BYTE_0 src1_sel:DWORD
	v_lshlrev_b64 v[36:37], v50, -1
	v_addc_co_u32_e32 v40, vcc, 0, v50, vcc
	v_and_b32_e32 v33, s37, v37
	v_lshlrev_b32_e32 v54, 2, v40
	v_or_b32_e32 v33, 0x80000000, v33
	ds_bpermute_b32 v40, v54, v38
	v_and_b32_e32 v35, s36, v36
	v_ffbl_b32_e32 v33, v33
	v_add_u32_e32 v33, 32, v33
	v_ffbl_b32_e32 v35, v35
	v_min_u32_e32 v33, v35, v33
	v_cmp_lt_u32_e32 vcc, v53, v33
	v_add_u32_e32 v56, 2, v53
	v_add_u32_e32 v58, 4, v53
	s_waitcnt lgkmcnt(0)
	v_cndmask_b32_e32 v35, 0, v40, vcc
	v_cmp_gt_u32_e32 vcc, 62, v53
	v_add_u32_e32 v35, v35, v38
	v_add_u32_e32 v60, 8, v53
	v_cndmask_b32_e64 v38, 0, 1, vcc
	v_lshlrev_b32_e32 v38, 1, v38
	v_add_lshl_u32 v55, v38, v50, 2
	ds_bpermute_b32 v38, v55, v35
	v_cmp_le_u32_e32 vcc, v56, v33
	v_add_u32_e32 v62, 16, v53
	v_add_u32_e32 v64, 32, v53
	s_waitcnt lgkmcnt(0)
	v_cndmask_b32_e32 v38, 0, v38, vcc
	v_cmp_gt_u32_e32 vcc, 60, v53
	v_add_u32_e32 v35, v35, v38
	s_nop 0
	v_cndmask_b32_e64 v38, 0, 1, vcc
	v_lshlrev_b32_e32 v38, 2, v38
	v_add_lshl_u32 v57, v38, v50, 2
	ds_bpermute_b32 v38, v57, v35
	v_cmp_le_u32_e32 vcc, v58, v33
	s_waitcnt lgkmcnt(0)
	s_nop 0
	v_cndmask_b32_e32 v38, 0, v38, vcc
	v_cmp_gt_u32_e32 vcc, 56, v53
	v_add_u32_e32 v35, v35, v38
	s_nop 0
	v_cndmask_b32_e64 v38, 0, 1, vcc
	v_lshlrev_b32_e32 v38, 3, v38
	v_add_lshl_u32 v59, v38, v50, 2
	ds_bpermute_b32 v38, v59, v35
	v_cmp_le_u32_e32 vcc, v60, v33
	s_waitcnt lgkmcnt(0)
	s_nop 0
	;; [unrolled: 11-line block ×4, first 2 shown]
	v_cndmask_b32_e32 v33, 0, v38, vcc
	v_add_u32_e32 v38, v35, v33
	v_mov_b32_e32 v35, 0
	s_branch .LBB61_63
.LBB61_62:                              ;   in Loop: Header=BB61_63 Depth=1
	s_or_b64 exec, exec, s[36:37]
	v_cmp_eq_u16_sdwa s[36:37], v39, v46 src0_sel:BYTE_0 src1_sel:DWORD
	ds_bpermute_b32 v65, v54, v38
	v_subrev_u32_e32 v34, 64, v34
	v_and_b32_e32 v40, s37, v37
	v_or_b32_e32 v40, 0x80000000, v40
	v_and_b32_e32 v41, s36, v36
	v_ffbl_b32_e32 v40, v40
	v_add_u32_e32 v40, 32, v40
	v_ffbl_b32_e32 v41, v41
	v_min_u32_e32 v40, v41, v40
	v_cmp_lt_u32_e32 vcc, v53, v40
	s_waitcnt lgkmcnt(0)
	s_nop 0
	v_cndmask_b32_e32 v41, 0, v65, vcc
	v_add_u32_e32 v38, v41, v38
	ds_bpermute_b32 v41, v55, v38
	v_cmp_le_u32_e32 vcc, v56, v40
	s_waitcnt lgkmcnt(0)
	s_nop 0
	v_cndmask_b32_e32 v41, 0, v41, vcc
	v_add_u32_e32 v38, v38, v41
	ds_bpermute_b32 v41, v57, v38
	v_cmp_le_u32_e32 vcc, v58, v40
	;; [unrolled: 6-line block ×5, first 2 shown]
	s_waitcnt lgkmcnt(0)
	s_nop 0
	v_cndmask_b32_e32 v40, 0, v41, vcc
	v_add3_u32 v38, v40, v33, v38
.LBB61_63:                              ; =>This Loop Header: Depth=1
                                        ;     Child Loop BB61_66 Depth 2
                                        ;       Child Loop BB61_67 Depth 3
	v_cmp_ne_u16_sdwa s[36:37], v39, v46 src0_sel:BYTE_0 src1_sel:DWORD
	s_nop 1
	v_cndmask_b32_e64 v33, 0, 1, s[36:37]
	;;#ASMSTART
	;;#ASMEND
	s_nop 0
	v_cmp_ne_u32_e32 vcc, 0, v33
	s_cmp_lg_u64 vcc, exec
	v_mov_b32_e32 v33, v38
	s_cbranch_scc1 .LBB61_70
; %bb.64:                               ;   in Loop: Header=BB61_63 Depth=1
	v_lshl_add_u64 v[40:41], v[34:35], 3, s[30:31]
	global_load_dwordx2 v[38:39], v[40:41], off sc1
	s_waitcnt vmcnt(0)
	v_cmp_eq_u16_sdwa s[38:39], v39, v35 src0_sel:BYTE_0 src1_sel:DWORD
	s_and_saveexec_b64 s[36:37], s[38:39]
	s_cbranch_execz .LBB61_62
; %bb.65:                               ;   in Loop: Header=BB61_63 Depth=1
	s_mov_b32 s3, 1
	s_mov_b64 s[38:39], 0
.LBB61_66:                              ;   Parent Loop BB61_63 Depth=1
                                        ; =>  This Loop Header: Depth=2
                                        ;       Child Loop BB61_67 Depth 3
	s_max_u32 s33, s3, 1
.LBB61_67:                              ;   Parent Loop BB61_63 Depth=1
                                        ;     Parent Loop BB61_66 Depth=2
                                        ; =>    This Inner Loop Header: Depth=3
	s_add_i32 s33, s33, -1
	s_cmp_eq_u32 s33, 0
	s_sleep 1
	s_cbranch_scc0 .LBB61_67
; %bb.68:                               ;   in Loop: Header=BB61_66 Depth=2
	global_load_dwordx2 v[38:39], v[40:41], off sc1
	s_cmp_lt_u32 s3, 32
	s_cselect_b64 s[40:41], -1, 0
	s_cmp_lg_u64 s[40:41], 0
	s_addc_u32 s3, s3, 0
	s_waitcnt vmcnt(0)
	v_cmp_ne_u16_sdwa s[40:41], v39, v35 src0_sel:BYTE_0 src1_sel:DWORD
	s_or_b64 s[38:39], s[40:41], s[38:39]
	s_andn2_b64 exec, exec, s[38:39]
	s_cbranch_execnz .LBB61_66
; %bb.69:                               ;   in Loop: Header=BB61_63 Depth=1
	s_or_b64 exec, exec, s[38:39]
	s_branch .LBB61_62
.LBB61_70:                              ;   in Loop: Header=BB61_63 Depth=1
                                        ; implicit-def: $vgpr38
                                        ; implicit-def: $vgpr39
	s_cbranch_execz .LBB61_63
; %bb.71:
	s_and_saveexec_b64 s[36:37], s[14:15]
	s_cbranch_execz .LBB61_73
; %bb.72:
	s_add_i32 s2, s2, 64
	s_mov_b32 s3, 0
	s_lshl_b64 s[2:3], s[2:3], 3
	s_add_u32 s2, s30, s2
	v_add_u32_e32 v34, v33, v32
	v_mov_b32_e32 v35, 2
	s_addc_u32 s3, s31, s3
	v_mov_b32_e32 v36, 0
	global_store_dwordx2 v36, v[34:35], s[2:3] sc1
	ds_write_b64 v36, v[32:33] offset:28672
.LBB61_73:
	s_or_b64 exec, exec, s[36:37]
	v_cmp_eq_u32_e32 vcc, 0, v0
	s_and_b64 exec, exec, vcc
	s_cbranch_execz .LBB61_75
; %bb.74:
	v_mov_b32_e32 v32, 0
	ds_write_b32 v32, v33 offset:28
.LBB61_75:
	s_or_b64 exec, exec, s[34:35]
	v_mov_b32_e32 v32, 0
	s_waitcnt lgkmcnt(0)
	s_barrier
	ds_read_b32 v33, v32 offset:28
	v_cndmask_b32_e64 v34, v44, v42, s[14:15]
	v_cmp_ne_u32_e32 vcc, 0, v0
	s_waitcnt lgkmcnt(0)
	s_barrier
	v_cndmask_b32_e32 v34, 0, v34, vcc
	v_add_u32_e32 v46, v33, v34
	v_add_u32_e32 v44, v46, v1
	ds_read_b64 v[32:33], v32 offset:28672
	v_add_u32_e32 v42, v44, v43
	v_add_u32_e32 v40, v42, v45
	;; [unrolled: 1-line block ×5, first 2 shown]
	s_waitcnt lgkmcnt(0)
	v_readfirstlane_b32 s33, v32
	v_readfirstlane_b32 s2, v33
	v_lshrrev_b64 v[32:33], 24, v[30:31]
	s_branch .LBB61_86
.LBB61_76:
                                        ; implicit-def: $sgpr2
                                        ; implicit-def: $sgpr33
                                        ; implicit-def: $vgpr34
                                        ; implicit-def: $vgpr36
                                        ; implicit-def: $vgpr38
                                        ; implicit-def: $vgpr40
                                        ; implicit-def: $vgpr42
                                        ; implicit-def: $vgpr44
                                        ; implicit-def: $vgpr46
	v_lshrrev_b64 v[32:33], 24, v[30:31]
	s_cbranch_execz .LBB61_86
; %bb.77:
	s_nop 0
	v_mov_b32_dpp v33, v52 row_shr:1 row_mask:0xf bank_mask:0xf
	v_cndmask_b32_e64 v33, v33, 0, s[12:13]
	v_add_u32_e32 v33, v33, v52
	s_nop 1
	v_mov_b32_dpp v34, v33 row_shr:2 row_mask:0xf bank_mask:0xf
	v_cndmask_b32_e64 v34, 0, v34, s[10:11]
	v_add_u32_e32 v33, v33, v34
	;; [unrolled: 4-line block ×4, first 2 shown]
	s_nop 1
	v_mov_b32_dpp v34, v33 row_bcast:15 row_mask:0xf bank_mask:0xf
	v_cndmask_b32_e64 v34, v34, 0, s[4:5]
	v_add_u32_e32 v33, v33, v34
	s_nop 1
	v_mov_b32_dpp v34, v33 row_bcast:31 row_mask:0xf bank_mask:0xf
	v_cndmask_b32_e64 v34, 0, v34, s[0:1]
	v_add_u32_e32 v33, v33, v34
	s_and_saveexec_b64 s[0:1], s[16:17]
	s_cbranch_execz .LBB61_79
; %bb.78:
	v_lshlrev_b32_e32 v34, 2, v51
	ds_write_b32 v34, v33
.LBB61_79:
	s_or_b64 exec, exec, s[0:1]
	v_cmp_gt_u32_e32 vcc, 8, v0
	s_waitcnt lgkmcnt(0)
	s_barrier
	s_and_saveexec_b64 s[0:1], vcc
	s_cbranch_execz .LBB61_81
; %bb.80:
	v_lshlrev_b32_e32 v34, 2, v0
	ds_read_b32 v35, v34
	v_and_b32_e32 v36, 7, v50
	v_cmp_ne_u32_e32 vcc, 0, v36
	s_waitcnt lgkmcnt(0)
	v_mov_b32_dpp v37, v35 row_shr:1 row_mask:0xf bank_mask:0xf
	v_cndmask_b32_e32 v37, 0, v37, vcc
	v_add_u32_e32 v35, v37, v35
	v_cmp_lt_u32_e32 vcc, 1, v36
	s_nop 0
	v_mov_b32_dpp v37, v35 row_shr:2 row_mask:0xf bank_mask:0xf
	v_cndmask_b32_e32 v37, 0, v37, vcc
	v_add_u32_e32 v35, v35, v37
	v_cmp_lt_u32_e32 vcc, 3, v36
	s_nop 0
	v_mov_b32_dpp v37, v35 row_shr:4 row_mask:0xf bank_mask:0xf
	v_cndmask_b32_e32 v36, 0, v37, vcc
	v_add_u32_e32 v35, v35, v36
	ds_write_b32 v34, v35
.LBB61_81:
	s_or_b64 exec, exec, s[0:1]
	v_cmp_lt_u32_e32 vcc, 63, v0
	v_mov_b32_e32 v35, 0
	v_mov_b32_e32 v34, 0
	s_waitcnt lgkmcnt(0)
	s_barrier
	s_and_saveexec_b64 s[0:1], vcc
	s_cbranch_execz .LBB61_83
; %bb.82:
	v_lshl_add_u32 v34, v51, 2, -4
	ds_read_b32 v34, v34
.LBB61_83:
	s_or_b64 exec, exec, s[0:1]
	v_add_u32_e32 v36, -1, v50
	v_and_b32_e32 v37, 64, v50
	v_cmp_lt_i32_e32 vcc, v36, v37
	s_waitcnt lgkmcnt(0)
	v_add_u32_e32 v33, v34, v33
	ds_read_b32 v35, v35 offset:28
	v_cndmask_b32_e32 v36, v36, v50, vcc
	v_lshlrev_b32_e32 v36, 2, v36
	ds_bpermute_b32 v33, v36, v33
	s_mov_b32 s2, 0
	v_cmp_eq_u32_e32 vcc, 0, v0
	s_waitcnt lgkmcnt(1)
	v_readfirstlane_b32 s33, v35
	s_and_saveexec_b64 s[0:1], vcc
	s_cbranch_execz .LBB61_85
; %bb.84:
	v_mov_b32_e32 v35, 0
	v_mov_b32_e32 v36, s33
	;; [unrolled: 1-line block ×3, first 2 shown]
	global_store_dwordx2 v35, v[36:37], s[30:31] offset:512 sc1
.LBB61_85:
	s_or_b64 exec, exec, s[0:1]
	v_cmp_eq_u32_e64 s[0:1], 0, v50
	s_waitcnt lgkmcnt(0)
	s_barrier
	v_cndmask_b32_e64 v33, v33, v34, s[0:1]
	v_cndmask_b32_e64 v46, v33, 0, vcc
	v_add_u32_e32 v44, v46, v1
	v_add_u32_e32 v42, v44, v43
	v_add_u32_e32 v40, v42, v45
	v_add_u32_e32 v38, v40, v47
	v_add_u32_e32 v36, v38, v48
	v_add_u32_e32 v34, v36, v49
.LBB61_86:
	s_cmpk_lt_u32 s33, 0x201
	s_cselect_b64 s[4:5], -1, 0
	v_lshrrev_b32_e32 v33, 8, v30
	v_lshrrev_b32_e32 v1, 8, v31
	s_mov_b64 s[0:1], -1
	s_and_b64 vcc, exec, s[4:5]
	s_cbranch_vccz .LBB61_109
; %bb.87:
	s_add_i32 s3, s2, s33
	v_cmp_gt_u32_e32 vcc, s3, v46
	s_or_b64 s[6:7], s[28:29], vcc
	s_and_saveexec_b64 s[0:1], s[6:7]
	s_cbranch_execz .LBB61_90
; %bb.88:
	v_and_b32_e32 v35, 1, v30
	v_cmp_eq_u32_e32 vcc, 1, v35
	s_and_b64 exec, exec, vcc
	s_cbranch_execz .LBB61_90
; %bb.89:
	s_lshl_b64 s[6:7], s[18:19], 3
	s_add_u32 s6, s24, s6
	s_addc_u32 s7, s25, s7
	v_mov_b32_e32 v47, 0
	v_lshl_add_u64 v[48:49], v[46:47], 3, s[6:7]
	global_store_dwordx2 v[48:49], v[22:23], off
.LBB61_90:
	s_or_b64 exec, exec, s[0:1]
	v_cmp_gt_u32_e32 vcc, s3, v44
	s_or_b64 s[6:7], s[28:29], vcc
	s_and_saveexec_b64 s[0:1], s[6:7]
	s_cbranch_execz .LBB61_93
; %bb.91:
	v_and_b32_e32 v35, 1, v33
	v_cmp_eq_u32_e32 vcc, 1, v35
	s_and_b64 exec, exec, vcc
	s_cbranch_execz .LBB61_93
; %bb.92:
	s_lshl_b64 s[6:7], s[18:19], 3
	s_add_u32 s6, s24, s6
	s_addc_u32 s7, s25, s7
	v_mov_b32_e32 v45, 0
	v_lshl_add_u64 v[48:49], v[44:45], 3, s[6:7]
	global_store_dwordx2 v[48:49], v[24:25], off
.LBB61_93:
	s_or_b64 exec, exec, s[0:1]
	v_cmp_gt_u32_e32 vcc, s3, v42
	s_or_b64 s[6:7], s[28:29], vcc
	s_and_saveexec_b64 s[0:1], s[6:7]
	s_cbranch_execz .LBB61_96
; %bb.94:
	v_mov_b32_e32 v35, 1
	v_and_b32_sdwa v35, v35, v30 dst_sel:DWORD dst_unused:UNUSED_PAD src0_sel:DWORD src1_sel:WORD_1
	v_cmp_eq_u32_e32 vcc, 1, v35
	s_and_b64 exec, exec, vcc
	s_cbranch_execz .LBB61_96
; %bb.95:
	s_lshl_b64 s[6:7], s[18:19], 3
	s_add_u32 s6, s24, s6
	s_addc_u32 s7, s25, s7
	v_mov_b32_e32 v43, 0
	v_lshl_add_u64 v[48:49], v[42:43], 3, s[6:7]
	global_store_dwordx2 v[48:49], v[18:19], off
.LBB61_96:
	s_or_b64 exec, exec, s[0:1]
	v_cmp_gt_u32_e32 vcc, s3, v40
	s_or_b64 s[6:7], s[28:29], vcc
	s_and_saveexec_b64 s[0:1], s[6:7]
	s_cbranch_execz .LBB61_99
; %bb.97:
	v_and_b32_e32 v35, 1, v32
	v_cmp_eq_u32_e32 vcc, 1, v35
	s_and_b64 exec, exec, vcc
	s_cbranch_execz .LBB61_99
; %bb.98:
	s_lshl_b64 s[6:7], s[18:19], 3
	s_add_u32 s6, s24, s6
	s_addc_u32 s7, s25, s7
	v_mov_b32_e32 v41, 0
	v_lshl_add_u64 v[48:49], v[40:41], 3, s[6:7]
	global_store_dwordx2 v[48:49], v[20:21], off
.LBB61_99:
	s_or_b64 exec, exec, s[0:1]
	v_cmp_gt_u32_e32 vcc, s3, v38
	s_or_b64 s[6:7], s[28:29], vcc
	s_and_saveexec_b64 s[0:1], s[6:7]
	s_cbranch_execz .LBB61_102
; %bb.100:
	v_and_b32_e32 v35, 1, v31
	v_cmp_eq_u32_e32 vcc, 1, v35
	s_and_b64 exec, exec, vcc
	s_cbranch_execz .LBB61_102
; %bb.101:
	s_lshl_b64 s[6:7], s[18:19], 3
	s_add_u32 s6, s24, s6
	s_addc_u32 s7, s25, s7
	v_mov_b32_e32 v39, 0
	v_lshl_add_u64 v[48:49], v[38:39], 3, s[6:7]
	global_store_dwordx2 v[48:49], v[14:15], off
.LBB61_102:
	;; [unrolled: 18-line block ×3, first 2 shown]
	s_or_b64 exec, exec, s[0:1]
	v_cmp_gt_u32_e32 vcc, s3, v34
	s_or_b64 s[6:7], s[28:29], vcc
	s_and_saveexec_b64 s[0:1], s[6:7]
	s_cbranch_execz .LBB61_108
; %bb.106:
	v_mov_b32_e32 v35, 1
	v_and_b32_sdwa v35, v35, v31 dst_sel:DWORD dst_unused:UNUSED_PAD src0_sel:DWORD src1_sel:WORD_1
	v_cmp_eq_u32_e32 vcc, 1, v35
	s_and_b64 exec, exec, vcc
	s_cbranch_execz .LBB61_108
; %bb.107:
	s_lshl_b64 s[6:7], s[18:19], 3
	s_add_u32 s6, s24, s6
	s_addc_u32 s7, s25, s7
	v_mov_b32_e32 v35, 0
	v_lshl_add_u64 v[48:49], v[34:35], 3, s[6:7]
	global_store_dwordx2 v[48:49], v[28:29], off
.LBB61_108:
	s_or_b64 exec, exec, s[0:1]
	s_mov_b64 s[0:1], 0
.LBB61_109:
	v_and_b32_e32 v48, 1, v30
	s_and_b64 vcc, exec, s[0:1]
	v_cmp_eq_u32_e64 s[0:1], 1, v48
	s_cbranch_vccz .LBB61_128
; %bb.110:
	s_and_saveexec_b64 s[6:7], s[0:1]
	s_cbranch_execz .LBB61_112
; %bb.111:
	v_subrev_u32_e32 v35, s2, v46
	v_lshlrev_b32_e32 v35, 3, v35
	ds_write_b64 v35, v[22:23]
.LBB61_112:
	s_or_b64 exec, exec, s[6:7]
	v_and_b32_e32 v22, 1, v33
	v_cmp_eq_u32_e32 vcc, 1, v22
	s_and_saveexec_b64 s[0:1], vcc
	s_cbranch_execz .LBB61_114
; %bb.113:
	v_subrev_u32_e32 v22, s2, v44
	v_lshlrev_b32_e32 v22, 3, v22
	ds_write_b64 v22, v[24:25]
.LBB61_114:
	s_or_b64 exec, exec, s[0:1]
	v_mov_b32_e32 v22, 1
	v_and_b32_sdwa v22, v22, v30 dst_sel:DWORD dst_unused:UNUSED_PAD src0_sel:DWORD src1_sel:WORD_1
	v_cmp_eq_u32_e32 vcc, 1, v22
	s_and_saveexec_b64 s[0:1], vcc
	s_cbranch_execz .LBB61_116
; %bb.115:
	v_subrev_u32_e32 v22, s2, v42
	v_lshlrev_b32_e32 v22, 3, v22
	ds_write_b64 v22, v[18:19]
.LBB61_116:
	s_or_b64 exec, exec, s[0:1]
	v_and_b32_e32 v18, 1, v32
	v_cmp_eq_u32_e32 vcc, 1, v18
	s_and_saveexec_b64 s[0:1], vcc
	s_cbranch_execz .LBB61_118
; %bb.117:
	v_subrev_u32_e32 v18, s2, v40
	v_lshlrev_b32_e32 v18, 3, v18
	ds_write_b64 v18, v[20:21]
.LBB61_118:
	s_or_b64 exec, exec, s[0:1]
	v_and_b32_e32 v18, 1, v31
	;; [unrolled: 10-line block ×3, first 2 shown]
	v_cmp_eq_u32_e32 vcc, 1, v14
	s_and_saveexec_b64 s[0:1], vcc
	s_cbranch_execz .LBB61_122
; %bb.121:
	v_subrev_u32_e32 v14, s2, v36
	v_lshlrev_b32_e32 v14, 3, v14
	ds_write_b64 v14, v[16:17]
.LBB61_122:
	s_or_b64 exec, exec, s[0:1]
	v_mov_b32_e32 v14, 1
	v_and_b32_sdwa v14, v14, v31 dst_sel:DWORD dst_unused:UNUSED_PAD src0_sel:DWORD src1_sel:WORD_1
	v_cmp_eq_u32_e32 vcc, 1, v14
	s_and_saveexec_b64 s[0:1], vcc
	s_cbranch_execz .LBB61_124
; %bb.123:
	v_subrev_u32_e32 v14, s2, v34
	v_lshlrev_b32_e32 v14, 3, v14
	ds_write_b64 v14, v[28:29]
.LBB61_124:
	s_or_b64 exec, exec, s[0:1]
	v_cmp_gt_u32_e32 vcc, s33, v0
	s_waitcnt lgkmcnt(0)
	s_barrier
	s_and_saveexec_b64 s[0:1], vcc
	s_cbranch_execz .LBB61_127
; %bb.125:
	s_mov_b32 s3, 0
	s_lshl_b64 s[6:7], s[18:19], 3
	s_lshl_b64 s[8:9], s[2:3], 3
	s_add_u32 s3, s6, s8
	s_addc_u32 s7, s7, s9
	s_add_u32 s6, s24, s3
	v_lshlrev_b32_e32 v14, 3, v0
	v_mov_b32_e32 v15, 0
	s_addc_u32 s7, s25, s7
	v_lshl_add_u64 v[16:17], s[6:7], 0, v[14:15]
	s_mov_b64 s[6:7], 0
	s_mov_b64 s[8:9], 0x1000
	v_mov_b32_e32 v15, v0
.LBB61_126:                             ; =>This Inner Loop Header: Depth=1
	ds_read_b64 v[18:19], v14
	v_add_u32_e32 v15, 0x200, v15
	v_cmp_le_u32_e32 vcc, s33, v15
	v_add_u32_e32 v14, 0x1000, v14
	s_or_b64 s[6:7], vcc, s[6:7]
	s_waitcnt lgkmcnt(0)
	global_store_dwordx2 v[16:17], v[18:19], off
	v_lshl_add_u64 v[16:17], v[16:17], 0, s[8:9]
	s_andn2_b64 exec, exec, s[6:7]
	s_cbranch_execnz .LBB61_126
.LBB61_127:
	s_or_b64 exec, exec, s[0:1]
.LBB61_128:
	s_mov_b64 s[0:1], -1
	s_and_b64 vcc, exec, s[4:5]
	s_barrier
	s_cbranch_vccnz .LBB61_132
; %bb.129:
	s_and_b64 vcc, exec, s[0:1]
	s_cbranch_vccnz .LBB61_154
.LBB61_130:
	v_cmp_eq_u32_e32 vcc, 0, v0
	s_and_b64 s[0:1], vcc, s[22:23]
	s_and_saveexec_b64 s[4:5], s[0:1]
	s_cbranch_execnz .LBB61_172
.LBB61_131:
	s_endpgm
.LBB61_132:
	s_add_i32 s3, s2, s33
	v_cmp_gt_u32_e32 vcc, s3, v46
	s_or_b64 s[4:5], s[28:29], vcc
	s_and_saveexec_b64 s[0:1], s[4:5]
	s_cbranch_execz .LBB61_135
; %bb.133:
	v_cmp_eq_u32_e32 vcc, 1, v48
	s_and_b64 exec, exec, vcc
	s_cbranch_execz .LBB61_135
; %bb.134:
	s_lshl_b64 s[4:5], s[18:19], 3
	s_add_u32 s4, s26, s4
	s_addc_u32 s5, s27, s5
	v_mov_b32_e32 v47, 0
	v_lshl_add_u64 v[14:15], v[46:47], 3, s[4:5]
	global_store_dwordx2 v[14:15], v[10:11], off
.LBB61_135:
	s_or_b64 exec, exec, s[0:1]
	v_cmp_gt_u32_e32 vcc, s3, v44
	s_or_b64 s[4:5], s[28:29], vcc
	s_and_saveexec_b64 s[0:1], s[4:5]
	s_cbranch_execz .LBB61_138
; %bb.136:
	v_and_b32_e32 v14, 1, v33
	v_cmp_eq_u32_e32 vcc, 1, v14
	s_and_b64 exec, exec, vcc
	s_cbranch_execz .LBB61_138
; %bb.137:
	s_lshl_b64 s[4:5], s[18:19], 3
	s_add_u32 s4, s26, s4
	s_addc_u32 s5, s27, s5
	v_mov_b32_e32 v45, 0
	v_lshl_add_u64 v[14:15], v[44:45], 3, s[4:5]
	global_store_dwordx2 v[14:15], v[12:13], off
.LBB61_138:
	s_or_b64 exec, exec, s[0:1]
	v_cmp_gt_u32_e32 vcc, s3, v42
	s_or_b64 s[4:5], s[28:29], vcc
	s_and_saveexec_b64 s[0:1], s[4:5]
	s_cbranch_execz .LBB61_141
; %bb.139:
	v_mov_b32_e32 v14, 1
	v_and_b32_sdwa v14, v14, v30 dst_sel:DWORD dst_unused:UNUSED_PAD src0_sel:DWORD src1_sel:WORD_1
	v_cmp_eq_u32_e32 vcc, 1, v14
	s_and_b64 exec, exec, vcc
	s_cbranch_execz .LBB61_141
; %bb.140:
	s_lshl_b64 s[4:5], s[18:19], 3
	s_add_u32 s4, s26, s4
	s_addc_u32 s5, s27, s5
	v_mov_b32_e32 v43, 0
	v_lshl_add_u64 v[14:15], v[42:43], 3, s[4:5]
	global_store_dwordx2 v[14:15], v[6:7], off
.LBB61_141:
	s_or_b64 exec, exec, s[0:1]
	v_cmp_gt_u32_e32 vcc, s3, v40
	s_or_b64 s[4:5], s[28:29], vcc
	s_and_saveexec_b64 s[0:1], s[4:5]
	s_cbranch_execz .LBB61_144
; %bb.142:
	v_and_b32_e32 v14, 1, v32
	v_cmp_eq_u32_e32 vcc, 1, v14
	s_and_b64 exec, exec, vcc
	s_cbranch_execz .LBB61_144
; %bb.143:
	s_lshl_b64 s[4:5], s[18:19], 3
	s_add_u32 s4, s26, s4
	s_addc_u32 s5, s27, s5
	v_mov_b32_e32 v41, 0
	v_lshl_add_u64 v[14:15], v[40:41], 3, s[4:5]
	global_store_dwordx2 v[14:15], v[8:9], off
.LBB61_144:
	s_or_b64 exec, exec, s[0:1]
	v_cmp_gt_u32_e32 vcc, s3, v38
	s_or_b64 s[4:5], s[28:29], vcc
	s_and_saveexec_b64 s[0:1], s[4:5]
	s_cbranch_execz .LBB61_147
; %bb.145:
	v_and_b32_e32 v14, 1, v31
	v_cmp_eq_u32_e32 vcc, 1, v14
	s_and_b64 exec, exec, vcc
	s_cbranch_execz .LBB61_147
; %bb.146:
	s_lshl_b64 s[4:5], s[18:19], 3
	s_add_u32 s4, s26, s4
	s_addc_u32 s5, s27, s5
	v_mov_b32_e32 v39, 0
	v_lshl_add_u64 v[14:15], v[38:39], 3, s[4:5]
	global_store_dwordx2 v[14:15], v[2:3], off
.LBB61_147:
	;; [unrolled: 18-line block ×3, first 2 shown]
	s_or_b64 exec, exec, s[0:1]
	v_cmp_gt_u32_e32 vcc, s3, v34
	s_or_b64 s[4:5], s[28:29], vcc
	s_and_saveexec_b64 s[0:1], s[4:5]
	s_cbranch_execz .LBB61_153
; %bb.151:
	v_mov_b32_e32 v14, 1
	v_and_b32_sdwa v14, v14, v31 dst_sel:DWORD dst_unused:UNUSED_PAD src0_sel:DWORD src1_sel:WORD_1
	v_cmp_eq_u32_e32 vcc, 1, v14
	s_and_b64 exec, exec, vcc
	s_cbranch_execz .LBB61_153
; %bb.152:
	s_lshl_b64 s[4:5], s[18:19], 3
	s_add_u32 s4, s26, s4
	s_addc_u32 s5, s27, s5
	v_mov_b32_e32 v35, 0
	v_lshl_add_u64 v[14:15], v[34:35], 3, s[4:5]
	global_store_dwordx2 v[14:15], v[26:27], off
.LBB61_153:
	s_or_b64 exec, exec, s[0:1]
	s_branch .LBB61_130
.LBB61_154:
	v_cmp_eq_u32_e32 vcc, 1, v48
	s_and_saveexec_b64 s[0:1], vcc
	s_cbranch_execz .LBB61_156
; %bb.155:
	v_subrev_u32_e32 v14, s2, v46
	v_lshlrev_b32_e32 v14, 3, v14
	ds_write_b64 v14, v[10:11]
.LBB61_156:
	s_or_b64 exec, exec, s[0:1]
	v_and_b32_e32 v10, 1, v33
	v_cmp_eq_u32_e32 vcc, 1, v10
	s_and_saveexec_b64 s[0:1], vcc
	s_cbranch_execz .LBB61_158
; %bb.157:
	v_subrev_u32_e32 v10, s2, v44
	v_lshlrev_b32_e32 v10, 3, v10
	ds_write_b64 v10, v[12:13]
.LBB61_158:
	s_or_b64 exec, exec, s[0:1]
	v_mov_b32_e32 v10, 1
	v_and_b32_sdwa v10, v10, v30 dst_sel:DWORD dst_unused:UNUSED_PAD src0_sel:DWORD src1_sel:WORD_1
	v_cmp_eq_u32_e32 vcc, 1, v10
	s_and_saveexec_b64 s[0:1], vcc
	s_cbranch_execz .LBB61_160
; %bb.159:
	v_subrev_u32_e32 v10, s2, v42
	v_lshlrev_b32_e32 v10, 3, v10
	ds_write_b64 v10, v[6:7]
.LBB61_160:
	s_or_b64 exec, exec, s[0:1]
	v_and_b32_e32 v6, 1, v32
	v_cmp_eq_u32_e32 vcc, 1, v6
	s_and_saveexec_b64 s[0:1], vcc
	s_cbranch_execz .LBB61_162
; %bb.161:
	v_subrev_u32_e32 v6, s2, v40
	v_lshlrev_b32_e32 v6, 3, v6
	ds_write_b64 v6, v[8:9]
.LBB61_162:
	s_or_b64 exec, exec, s[0:1]
	v_and_b32_e32 v6, 1, v31
	;; [unrolled: 10-line block ×3, first 2 shown]
	v_cmp_eq_u32_e32 vcc, 1, v1
	s_and_saveexec_b64 s[0:1], vcc
	s_cbranch_execz .LBB61_166
; %bb.165:
	v_subrev_u32_e32 v1, s2, v36
	v_lshlrev_b32_e32 v1, 3, v1
	ds_write_b64 v1, v[4:5]
.LBB61_166:
	s_or_b64 exec, exec, s[0:1]
	v_mov_b32_e32 v1, 1
	v_and_b32_sdwa v1, v1, v31 dst_sel:DWORD dst_unused:UNUSED_PAD src0_sel:DWORD src1_sel:WORD_1
	v_cmp_eq_u32_e32 vcc, 1, v1
	s_and_saveexec_b64 s[0:1], vcc
	s_cbranch_execz .LBB61_168
; %bb.167:
	v_subrev_u32_e32 v1, s2, v34
	v_lshlrev_b32_e32 v1, 3, v1
	ds_write_b64 v1, v[26:27]
.LBB61_168:
	s_or_b64 exec, exec, s[0:1]
	v_cmp_gt_u32_e32 vcc, s33, v0
	s_waitcnt lgkmcnt(0)
	s_barrier
	s_and_saveexec_b64 s[0:1], vcc
	s_cbranch_execz .LBB61_171
; %bb.169:
	s_mov_b32 s3, 0
	s_lshl_b64 s[4:5], s[18:19], 3
	s_lshl_b64 s[6:7], s[2:3], 3
	s_add_u32 s3, s4, s6
	s_addc_u32 s5, s5, s7
	s_add_u32 s4, s26, s3
	v_lshlrev_b32_e32 v2, 3, v0
	v_mov_b32_e32 v3, 0
	s_addc_u32 s5, s27, s5
	v_lshl_add_u64 v[4:5], s[4:5], 0, v[2:3]
	s_mov_b64 s[4:5], 0
	s_mov_b64 s[6:7], 0x1000
	v_mov_b32_e32 v1, v0
.LBB61_170:                             ; =>This Inner Loop Header: Depth=1
	ds_read_b64 v[6:7], v2
	v_add_u32_e32 v1, 0x200, v1
	v_cmp_le_u32_e32 vcc, s33, v1
	v_add_u32_e32 v2, 0x1000, v2
	s_or_b64 s[4:5], vcc, s[4:5]
	s_waitcnt lgkmcnt(0)
	global_store_dwordx2 v[4:5], v[6:7], off
	v_lshl_add_u64 v[4:5], v[4:5], 0, s[6:7]
	s_andn2_b64 exec, exec, s[4:5]
	s_cbranch_execnz .LBB61_170
.LBB61_171:
	s_or_b64 exec, exec, s[0:1]
	v_cmp_eq_u32_e32 vcc, 0, v0
	s_and_b64 s[0:1], vcc, s[22:23]
	s_and_saveexec_b64 s[4:5], s[0:1]
	s_cbranch_execz .LBB61_131
.LBB61_172:
	s_add_u32 s0, s18, s33
	s_addc_u32 s1, s19, 0
	s_add_u32 s0, s0, s2
	s_addc_u32 s1, s1, 0
	v_mov_b32_e32 v2, 0
	v_mov_b64_e32 v[0:1], s[0:1]
	global_store_dwordx2 v2, v[0:1], s[20:21]
	s_endpgm
.LBB61_173:
	s_or_b64 exec, exec, s[4:5]
	s_and_saveexec_b64 s[4:5], s[16:17]
	s_cbranch_execnz .LBB61_42
	s_branch .LBB61_43
	.section	.rodata,"a",@progbits
	.p2align	6, 0x0
	.amdhsa_kernel _ZN7rocprim17ROCPRIM_400000_NS6detail17trampoline_kernelINS0_14default_configENS1_25partition_config_selectorILNS1_17partition_subalgoE9EllbEEZZNS1_14partition_implILS5_9ELb0ES3_jPKlN6thrust23THRUST_200600_302600_NS17counting_iteratorIlNSB_11use_defaultESD_SD_EEPNS0_10empty_typeENS0_5tupleIJPlSF_EEENSH_IJSI_SG_EEENS0_18inequality_wrapperIN6hipcub16HIPCUB_304000_NS8EqualityEEESI_JSF_EEE10hipError_tPvRmT3_T4_T5_T6_T7_T9_mT8_P12ihipStream_tbDpT10_ENKUlT_T0_E_clISt17integral_constantIbLb1EES18_IbLb0EEEEDaS14_S15_EUlS14_E_NS1_11comp_targetILNS1_3genE5ELNS1_11target_archE942ELNS1_3gpuE9ELNS1_3repE0EEENS1_30default_config_static_selectorELNS0_4arch9wavefront6targetE1EEEvT1_
		.amdhsa_group_segment_fixed_size 28680
		.amdhsa_private_segment_fixed_size 0
		.amdhsa_kernarg_size 112
		.amdhsa_user_sgpr_count 2
		.amdhsa_user_sgpr_dispatch_ptr 0
		.amdhsa_user_sgpr_queue_ptr 0
		.amdhsa_user_sgpr_kernarg_segment_ptr 1
		.amdhsa_user_sgpr_dispatch_id 0
		.amdhsa_user_sgpr_kernarg_preload_length 0
		.amdhsa_user_sgpr_kernarg_preload_offset 0
		.amdhsa_user_sgpr_private_segment_size 0
		.amdhsa_uses_dynamic_stack 0
		.amdhsa_enable_private_segment 0
		.amdhsa_system_sgpr_workgroup_id_x 1
		.amdhsa_system_sgpr_workgroup_id_y 0
		.amdhsa_system_sgpr_workgroup_id_z 0
		.amdhsa_system_sgpr_workgroup_info 0
		.amdhsa_system_vgpr_workitem_id 0
		.amdhsa_next_free_vgpr 66
		.amdhsa_next_free_sgpr 42
		.amdhsa_accum_offset 68
		.amdhsa_reserve_vcc 1
		.amdhsa_float_round_mode_32 0
		.amdhsa_float_round_mode_16_64 0
		.amdhsa_float_denorm_mode_32 3
		.amdhsa_float_denorm_mode_16_64 3
		.amdhsa_dx10_clamp 1
		.amdhsa_ieee_mode 1
		.amdhsa_fp16_overflow 0
		.amdhsa_tg_split 0
		.amdhsa_exception_fp_ieee_invalid_op 0
		.amdhsa_exception_fp_denorm_src 0
		.amdhsa_exception_fp_ieee_div_zero 0
		.amdhsa_exception_fp_ieee_overflow 0
		.amdhsa_exception_fp_ieee_underflow 0
		.amdhsa_exception_fp_ieee_inexact 0
		.amdhsa_exception_int_div_zero 0
	.end_amdhsa_kernel
	.section	.text._ZN7rocprim17ROCPRIM_400000_NS6detail17trampoline_kernelINS0_14default_configENS1_25partition_config_selectorILNS1_17partition_subalgoE9EllbEEZZNS1_14partition_implILS5_9ELb0ES3_jPKlN6thrust23THRUST_200600_302600_NS17counting_iteratorIlNSB_11use_defaultESD_SD_EEPNS0_10empty_typeENS0_5tupleIJPlSF_EEENSH_IJSI_SG_EEENS0_18inequality_wrapperIN6hipcub16HIPCUB_304000_NS8EqualityEEESI_JSF_EEE10hipError_tPvRmT3_T4_T5_T6_T7_T9_mT8_P12ihipStream_tbDpT10_ENKUlT_T0_E_clISt17integral_constantIbLb1EES18_IbLb0EEEEDaS14_S15_EUlS14_E_NS1_11comp_targetILNS1_3genE5ELNS1_11target_archE942ELNS1_3gpuE9ELNS1_3repE0EEENS1_30default_config_static_selectorELNS0_4arch9wavefront6targetE1EEEvT1_,"axG",@progbits,_ZN7rocprim17ROCPRIM_400000_NS6detail17trampoline_kernelINS0_14default_configENS1_25partition_config_selectorILNS1_17partition_subalgoE9EllbEEZZNS1_14partition_implILS5_9ELb0ES3_jPKlN6thrust23THRUST_200600_302600_NS17counting_iteratorIlNSB_11use_defaultESD_SD_EEPNS0_10empty_typeENS0_5tupleIJPlSF_EEENSH_IJSI_SG_EEENS0_18inequality_wrapperIN6hipcub16HIPCUB_304000_NS8EqualityEEESI_JSF_EEE10hipError_tPvRmT3_T4_T5_T6_T7_T9_mT8_P12ihipStream_tbDpT10_ENKUlT_T0_E_clISt17integral_constantIbLb1EES18_IbLb0EEEEDaS14_S15_EUlS14_E_NS1_11comp_targetILNS1_3genE5ELNS1_11target_archE942ELNS1_3gpuE9ELNS1_3repE0EEENS1_30default_config_static_selectorELNS0_4arch9wavefront6targetE1EEEvT1_,comdat
.Lfunc_end61:
	.size	_ZN7rocprim17ROCPRIM_400000_NS6detail17trampoline_kernelINS0_14default_configENS1_25partition_config_selectorILNS1_17partition_subalgoE9EllbEEZZNS1_14partition_implILS5_9ELb0ES3_jPKlN6thrust23THRUST_200600_302600_NS17counting_iteratorIlNSB_11use_defaultESD_SD_EEPNS0_10empty_typeENS0_5tupleIJPlSF_EEENSH_IJSI_SG_EEENS0_18inequality_wrapperIN6hipcub16HIPCUB_304000_NS8EqualityEEESI_JSF_EEE10hipError_tPvRmT3_T4_T5_T6_T7_T9_mT8_P12ihipStream_tbDpT10_ENKUlT_T0_E_clISt17integral_constantIbLb1EES18_IbLb0EEEEDaS14_S15_EUlS14_E_NS1_11comp_targetILNS1_3genE5ELNS1_11target_archE942ELNS1_3gpuE9ELNS1_3repE0EEENS1_30default_config_static_selectorELNS0_4arch9wavefront6targetE1EEEvT1_, .Lfunc_end61-_ZN7rocprim17ROCPRIM_400000_NS6detail17trampoline_kernelINS0_14default_configENS1_25partition_config_selectorILNS1_17partition_subalgoE9EllbEEZZNS1_14partition_implILS5_9ELb0ES3_jPKlN6thrust23THRUST_200600_302600_NS17counting_iteratorIlNSB_11use_defaultESD_SD_EEPNS0_10empty_typeENS0_5tupleIJPlSF_EEENSH_IJSI_SG_EEENS0_18inequality_wrapperIN6hipcub16HIPCUB_304000_NS8EqualityEEESI_JSF_EEE10hipError_tPvRmT3_T4_T5_T6_T7_T9_mT8_P12ihipStream_tbDpT10_ENKUlT_T0_E_clISt17integral_constantIbLb1EES18_IbLb0EEEEDaS14_S15_EUlS14_E_NS1_11comp_targetILNS1_3genE5ELNS1_11target_archE942ELNS1_3gpuE9ELNS1_3repE0EEENS1_30default_config_static_selectorELNS0_4arch9wavefront6targetE1EEEvT1_
                                        ; -- End function
	.section	.AMDGPU.csdata,"",@progbits
; Kernel info:
; codeLenInByte = 6788
; NumSgprs: 48
; NumVgprs: 66
; NumAgprs: 0
; TotalNumVgprs: 66
; ScratchSize: 0
; MemoryBound: 0
; FloatMode: 240
; IeeeMode: 1
; LDSByteSize: 28680 bytes/workgroup (compile time only)
; SGPRBlocks: 5
; VGPRBlocks: 8
; NumSGPRsForWavesPerEU: 48
; NumVGPRsForWavesPerEU: 66
; AccumOffset: 68
; Occupancy: 4
; WaveLimiterHint : 1
; COMPUTE_PGM_RSRC2:SCRATCH_EN: 0
; COMPUTE_PGM_RSRC2:USER_SGPR: 2
; COMPUTE_PGM_RSRC2:TRAP_HANDLER: 0
; COMPUTE_PGM_RSRC2:TGID_X_EN: 1
; COMPUTE_PGM_RSRC2:TGID_Y_EN: 0
; COMPUTE_PGM_RSRC2:TGID_Z_EN: 0
; COMPUTE_PGM_RSRC2:TIDIG_COMP_CNT: 0
; COMPUTE_PGM_RSRC3_GFX90A:ACCUM_OFFSET: 16
; COMPUTE_PGM_RSRC3_GFX90A:TG_SPLIT: 0
	.section	.text._ZN7rocprim17ROCPRIM_400000_NS6detail17trampoline_kernelINS0_14default_configENS1_25partition_config_selectorILNS1_17partition_subalgoE9EllbEEZZNS1_14partition_implILS5_9ELb0ES3_jPKlN6thrust23THRUST_200600_302600_NS17counting_iteratorIlNSB_11use_defaultESD_SD_EEPNS0_10empty_typeENS0_5tupleIJPlSF_EEENSH_IJSI_SG_EEENS0_18inequality_wrapperIN6hipcub16HIPCUB_304000_NS8EqualityEEESI_JSF_EEE10hipError_tPvRmT3_T4_T5_T6_T7_T9_mT8_P12ihipStream_tbDpT10_ENKUlT_T0_E_clISt17integral_constantIbLb1EES18_IbLb0EEEEDaS14_S15_EUlS14_E_NS1_11comp_targetILNS1_3genE4ELNS1_11target_archE910ELNS1_3gpuE8ELNS1_3repE0EEENS1_30default_config_static_selectorELNS0_4arch9wavefront6targetE1EEEvT1_,"axG",@progbits,_ZN7rocprim17ROCPRIM_400000_NS6detail17trampoline_kernelINS0_14default_configENS1_25partition_config_selectorILNS1_17partition_subalgoE9EllbEEZZNS1_14partition_implILS5_9ELb0ES3_jPKlN6thrust23THRUST_200600_302600_NS17counting_iteratorIlNSB_11use_defaultESD_SD_EEPNS0_10empty_typeENS0_5tupleIJPlSF_EEENSH_IJSI_SG_EEENS0_18inequality_wrapperIN6hipcub16HIPCUB_304000_NS8EqualityEEESI_JSF_EEE10hipError_tPvRmT3_T4_T5_T6_T7_T9_mT8_P12ihipStream_tbDpT10_ENKUlT_T0_E_clISt17integral_constantIbLb1EES18_IbLb0EEEEDaS14_S15_EUlS14_E_NS1_11comp_targetILNS1_3genE4ELNS1_11target_archE910ELNS1_3gpuE8ELNS1_3repE0EEENS1_30default_config_static_selectorELNS0_4arch9wavefront6targetE1EEEvT1_,comdat
	.protected	_ZN7rocprim17ROCPRIM_400000_NS6detail17trampoline_kernelINS0_14default_configENS1_25partition_config_selectorILNS1_17partition_subalgoE9EllbEEZZNS1_14partition_implILS5_9ELb0ES3_jPKlN6thrust23THRUST_200600_302600_NS17counting_iteratorIlNSB_11use_defaultESD_SD_EEPNS0_10empty_typeENS0_5tupleIJPlSF_EEENSH_IJSI_SG_EEENS0_18inequality_wrapperIN6hipcub16HIPCUB_304000_NS8EqualityEEESI_JSF_EEE10hipError_tPvRmT3_T4_T5_T6_T7_T9_mT8_P12ihipStream_tbDpT10_ENKUlT_T0_E_clISt17integral_constantIbLb1EES18_IbLb0EEEEDaS14_S15_EUlS14_E_NS1_11comp_targetILNS1_3genE4ELNS1_11target_archE910ELNS1_3gpuE8ELNS1_3repE0EEENS1_30default_config_static_selectorELNS0_4arch9wavefront6targetE1EEEvT1_ ; -- Begin function _ZN7rocprim17ROCPRIM_400000_NS6detail17trampoline_kernelINS0_14default_configENS1_25partition_config_selectorILNS1_17partition_subalgoE9EllbEEZZNS1_14partition_implILS5_9ELb0ES3_jPKlN6thrust23THRUST_200600_302600_NS17counting_iteratorIlNSB_11use_defaultESD_SD_EEPNS0_10empty_typeENS0_5tupleIJPlSF_EEENSH_IJSI_SG_EEENS0_18inequality_wrapperIN6hipcub16HIPCUB_304000_NS8EqualityEEESI_JSF_EEE10hipError_tPvRmT3_T4_T5_T6_T7_T9_mT8_P12ihipStream_tbDpT10_ENKUlT_T0_E_clISt17integral_constantIbLb1EES18_IbLb0EEEEDaS14_S15_EUlS14_E_NS1_11comp_targetILNS1_3genE4ELNS1_11target_archE910ELNS1_3gpuE8ELNS1_3repE0EEENS1_30default_config_static_selectorELNS0_4arch9wavefront6targetE1EEEvT1_
	.globl	_ZN7rocprim17ROCPRIM_400000_NS6detail17trampoline_kernelINS0_14default_configENS1_25partition_config_selectorILNS1_17partition_subalgoE9EllbEEZZNS1_14partition_implILS5_9ELb0ES3_jPKlN6thrust23THRUST_200600_302600_NS17counting_iteratorIlNSB_11use_defaultESD_SD_EEPNS0_10empty_typeENS0_5tupleIJPlSF_EEENSH_IJSI_SG_EEENS0_18inequality_wrapperIN6hipcub16HIPCUB_304000_NS8EqualityEEESI_JSF_EEE10hipError_tPvRmT3_T4_T5_T6_T7_T9_mT8_P12ihipStream_tbDpT10_ENKUlT_T0_E_clISt17integral_constantIbLb1EES18_IbLb0EEEEDaS14_S15_EUlS14_E_NS1_11comp_targetILNS1_3genE4ELNS1_11target_archE910ELNS1_3gpuE8ELNS1_3repE0EEENS1_30default_config_static_selectorELNS0_4arch9wavefront6targetE1EEEvT1_
	.p2align	8
	.type	_ZN7rocprim17ROCPRIM_400000_NS6detail17trampoline_kernelINS0_14default_configENS1_25partition_config_selectorILNS1_17partition_subalgoE9EllbEEZZNS1_14partition_implILS5_9ELb0ES3_jPKlN6thrust23THRUST_200600_302600_NS17counting_iteratorIlNSB_11use_defaultESD_SD_EEPNS0_10empty_typeENS0_5tupleIJPlSF_EEENSH_IJSI_SG_EEENS0_18inequality_wrapperIN6hipcub16HIPCUB_304000_NS8EqualityEEESI_JSF_EEE10hipError_tPvRmT3_T4_T5_T6_T7_T9_mT8_P12ihipStream_tbDpT10_ENKUlT_T0_E_clISt17integral_constantIbLb1EES18_IbLb0EEEEDaS14_S15_EUlS14_E_NS1_11comp_targetILNS1_3genE4ELNS1_11target_archE910ELNS1_3gpuE8ELNS1_3repE0EEENS1_30default_config_static_selectorELNS0_4arch9wavefront6targetE1EEEvT1_,@function
_ZN7rocprim17ROCPRIM_400000_NS6detail17trampoline_kernelINS0_14default_configENS1_25partition_config_selectorILNS1_17partition_subalgoE9EllbEEZZNS1_14partition_implILS5_9ELb0ES3_jPKlN6thrust23THRUST_200600_302600_NS17counting_iteratorIlNSB_11use_defaultESD_SD_EEPNS0_10empty_typeENS0_5tupleIJPlSF_EEENSH_IJSI_SG_EEENS0_18inequality_wrapperIN6hipcub16HIPCUB_304000_NS8EqualityEEESI_JSF_EEE10hipError_tPvRmT3_T4_T5_T6_T7_T9_mT8_P12ihipStream_tbDpT10_ENKUlT_T0_E_clISt17integral_constantIbLb1EES18_IbLb0EEEEDaS14_S15_EUlS14_E_NS1_11comp_targetILNS1_3genE4ELNS1_11target_archE910ELNS1_3gpuE8ELNS1_3repE0EEENS1_30default_config_static_selectorELNS0_4arch9wavefront6targetE1EEEvT1_: ; @_ZN7rocprim17ROCPRIM_400000_NS6detail17trampoline_kernelINS0_14default_configENS1_25partition_config_selectorILNS1_17partition_subalgoE9EllbEEZZNS1_14partition_implILS5_9ELb0ES3_jPKlN6thrust23THRUST_200600_302600_NS17counting_iteratorIlNSB_11use_defaultESD_SD_EEPNS0_10empty_typeENS0_5tupleIJPlSF_EEENSH_IJSI_SG_EEENS0_18inequality_wrapperIN6hipcub16HIPCUB_304000_NS8EqualityEEESI_JSF_EEE10hipError_tPvRmT3_T4_T5_T6_T7_T9_mT8_P12ihipStream_tbDpT10_ENKUlT_T0_E_clISt17integral_constantIbLb1EES18_IbLb0EEEEDaS14_S15_EUlS14_E_NS1_11comp_targetILNS1_3genE4ELNS1_11target_archE910ELNS1_3gpuE8ELNS1_3repE0EEENS1_30default_config_static_selectorELNS0_4arch9wavefront6targetE1EEEvT1_
; %bb.0:
	.section	.rodata,"a",@progbits
	.p2align	6, 0x0
	.amdhsa_kernel _ZN7rocprim17ROCPRIM_400000_NS6detail17trampoline_kernelINS0_14default_configENS1_25partition_config_selectorILNS1_17partition_subalgoE9EllbEEZZNS1_14partition_implILS5_9ELb0ES3_jPKlN6thrust23THRUST_200600_302600_NS17counting_iteratorIlNSB_11use_defaultESD_SD_EEPNS0_10empty_typeENS0_5tupleIJPlSF_EEENSH_IJSI_SG_EEENS0_18inequality_wrapperIN6hipcub16HIPCUB_304000_NS8EqualityEEESI_JSF_EEE10hipError_tPvRmT3_T4_T5_T6_T7_T9_mT8_P12ihipStream_tbDpT10_ENKUlT_T0_E_clISt17integral_constantIbLb1EES18_IbLb0EEEEDaS14_S15_EUlS14_E_NS1_11comp_targetILNS1_3genE4ELNS1_11target_archE910ELNS1_3gpuE8ELNS1_3repE0EEENS1_30default_config_static_selectorELNS0_4arch9wavefront6targetE1EEEvT1_
		.amdhsa_group_segment_fixed_size 0
		.amdhsa_private_segment_fixed_size 0
		.amdhsa_kernarg_size 112
		.amdhsa_user_sgpr_count 2
		.amdhsa_user_sgpr_dispatch_ptr 0
		.amdhsa_user_sgpr_queue_ptr 0
		.amdhsa_user_sgpr_kernarg_segment_ptr 1
		.amdhsa_user_sgpr_dispatch_id 0
		.amdhsa_user_sgpr_kernarg_preload_length 0
		.amdhsa_user_sgpr_kernarg_preload_offset 0
		.amdhsa_user_sgpr_private_segment_size 0
		.amdhsa_uses_dynamic_stack 0
		.amdhsa_enable_private_segment 0
		.amdhsa_system_sgpr_workgroup_id_x 1
		.amdhsa_system_sgpr_workgroup_id_y 0
		.amdhsa_system_sgpr_workgroup_id_z 0
		.amdhsa_system_sgpr_workgroup_info 0
		.amdhsa_system_vgpr_workitem_id 0
		.amdhsa_next_free_vgpr 1
		.amdhsa_next_free_sgpr 0
		.amdhsa_accum_offset 4
		.amdhsa_reserve_vcc 0
		.amdhsa_float_round_mode_32 0
		.amdhsa_float_round_mode_16_64 0
		.amdhsa_float_denorm_mode_32 3
		.amdhsa_float_denorm_mode_16_64 3
		.amdhsa_dx10_clamp 1
		.amdhsa_ieee_mode 1
		.amdhsa_fp16_overflow 0
		.amdhsa_tg_split 0
		.amdhsa_exception_fp_ieee_invalid_op 0
		.amdhsa_exception_fp_denorm_src 0
		.amdhsa_exception_fp_ieee_div_zero 0
		.amdhsa_exception_fp_ieee_overflow 0
		.amdhsa_exception_fp_ieee_underflow 0
		.amdhsa_exception_fp_ieee_inexact 0
		.amdhsa_exception_int_div_zero 0
	.end_amdhsa_kernel
	.section	.text._ZN7rocprim17ROCPRIM_400000_NS6detail17trampoline_kernelINS0_14default_configENS1_25partition_config_selectorILNS1_17partition_subalgoE9EllbEEZZNS1_14partition_implILS5_9ELb0ES3_jPKlN6thrust23THRUST_200600_302600_NS17counting_iteratorIlNSB_11use_defaultESD_SD_EEPNS0_10empty_typeENS0_5tupleIJPlSF_EEENSH_IJSI_SG_EEENS0_18inequality_wrapperIN6hipcub16HIPCUB_304000_NS8EqualityEEESI_JSF_EEE10hipError_tPvRmT3_T4_T5_T6_T7_T9_mT8_P12ihipStream_tbDpT10_ENKUlT_T0_E_clISt17integral_constantIbLb1EES18_IbLb0EEEEDaS14_S15_EUlS14_E_NS1_11comp_targetILNS1_3genE4ELNS1_11target_archE910ELNS1_3gpuE8ELNS1_3repE0EEENS1_30default_config_static_selectorELNS0_4arch9wavefront6targetE1EEEvT1_,"axG",@progbits,_ZN7rocprim17ROCPRIM_400000_NS6detail17trampoline_kernelINS0_14default_configENS1_25partition_config_selectorILNS1_17partition_subalgoE9EllbEEZZNS1_14partition_implILS5_9ELb0ES3_jPKlN6thrust23THRUST_200600_302600_NS17counting_iteratorIlNSB_11use_defaultESD_SD_EEPNS0_10empty_typeENS0_5tupleIJPlSF_EEENSH_IJSI_SG_EEENS0_18inequality_wrapperIN6hipcub16HIPCUB_304000_NS8EqualityEEESI_JSF_EEE10hipError_tPvRmT3_T4_T5_T6_T7_T9_mT8_P12ihipStream_tbDpT10_ENKUlT_T0_E_clISt17integral_constantIbLb1EES18_IbLb0EEEEDaS14_S15_EUlS14_E_NS1_11comp_targetILNS1_3genE4ELNS1_11target_archE910ELNS1_3gpuE8ELNS1_3repE0EEENS1_30default_config_static_selectorELNS0_4arch9wavefront6targetE1EEEvT1_,comdat
.Lfunc_end62:
	.size	_ZN7rocprim17ROCPRIM_400000_NS6detail17trampoline_kernelINS0_14default_configENS1_25partition_config_selectorILNS1_17partition_subalgoE9EllbEEZZNS1_14partition_implILS5_9ELb0ES3_jPKlN6thrust23THRUST_200600_302600_NS17counting_iteratorIlNSB_11use_defaultESD_SD_EEPNS0_10empty_typeENS0_5tupleIJPlSF_EEENSH_IJSI_SG_EEENS0_18inequality_wrapperIN6hipcub16HIPCUB_304000_NS8EqualityEEESI_JSF_EEE10hipError_tPvRmT3_T4_T5_T6_T7_T9_mT8_P12ihipStream_tbDpT10_ENKUlT_T0_E_clISt17integral_constantIbLb1EES18_IbLb0EEEEDaS14_S15_EUlS14_E_NS1_11comp_targetILNS1_3genE4ELNS1_11target_archE910ELNS1_3gpuE8ELNS1_3repE0EEENS1_30default_config_static_selectorELNS0_4arch9wavefront6targetE1EEEvT1_, .Lfunc_end62-_ZN7rocprim17ROCPRIM_400000_NS6detail17trampoline_kernelINS0_14default_configENS1_25partition_config_selectorILNS1_17partition_subalgoE9EllbEEZZNS1_14partition_implILS5_9ELb0ES3_jPKlN6thrust23THRUST_200600_302600_NS17counting_iteratorIlNSB_11use_defaultESD_SD_EEPNS0_10empty_typeENS0_5tupleIJPlSF_EEENSH_IJSI_SG_EEENS0_18inequality_wrapperIN6hipcub16HIPCUB_304000_NS8EqualityEEESI_JSF_EEE10hipError_tPvRmT3_T4_T5_T6_T7_T9_mT8_P12ihipStream_tbDpT10_ENKUlT_T0_E_clISt17integral_constantIbLb1EES18_IbLb0EEEEDaS14_S15_EUlS14_E_NS1_11comp_targetILNS1_3genE4ELNS1_11target_archE910ELNS1_3gpuE8ELNS1_3repE0EEENS1_30default_config_static_selectorELNS0_4arch9wavefront6targetE1EEEvT1_
                                        ; -- End function
	.section	.AMDGPU.csdata,"",@progbits
; Kernel info:
; codeLenInByte = 0
; NumSgprs: 6
; NumVgprs: 0
; NumAgprs: 0
; TotalNumVgprs: 0
; ScratchSize: 0
; MemoryBound: 0
; FloatMode: 240
; IeeeMode: 1
; LDSByteSize: 0 bytes/workgroup (compile time only)
; SGPRBlocks: 0
; VGPRBlocks: 0
; NumSGPRsForWavesPerEU: 6
; NumVGPRsForWavesPerEU: 1
; AccumOffset: 4
; Occupancy: 8
; WaveLimiterHint : 0
; COMPUTE_PGM_RSRC2:SCRATCH_EN: 0
; COMPUTE_PGM_RSRC2:USER_SGPR: 2
; COMPUTE_PGM_RSRC2:TRAP_HANDLER: 0
; COMPUTE_PGM_RSRC2:TGID_X_EN: 1
; COMPUTE_PGM_RSRC2:TGID_Y_EN: 0
; COMPUTE_PGM_RSRC2:TGID_Z_EN: 0
; COMPUTE_PGM_RSRC2:TIDIG_COMP_CNT: 0
; COMPUTE_PGM_RSRC3_GFX90A:ACCUM_OFFSET: 0
; COMPUTE_PGM_RSRC3_GFX90A:TG_SPLIT: 0
	.section	.text._ZN7rocprim17ROCPRIM_400000_NS6detail17trampoline_kernelINS0_14default_configENS1_25partition_config_selectorILNS1_17partition_subalgoE9EllbEEZZNS1_14partition_implILS5_9ELb0ES3_jPKlN6thrust23THRUST_200600_302600_NS17counting_iteratorIlNSB_11use_defaultESD_SD_EEPNS0_10empty_typeENS0_5tupleIJPlSF_EEENSH_IJSI_SG_EEENS0_18inequality_wrapperIN6hipcub16HIPCUB_304000_NS8EqualityEEESI_JSF_EEE10hipError_tPvRmT3_T4_T5_T6_T7_T9_mT8_P12ihipStream_tbDpT10_ENKUlT_T0_E_clISt17integral_constantIbLb1EES18_IbLb0EEEEDaS14_S15_EUlS14_E_NS1_11comp_targetILNS1_3genE3ELNS1_11target_archE908ELNS1_3gpuE7ELNS1_3repE0EEENS1_30default_config_static_selectorELNS0_4arch9wavefront6targetE1EEEvT1_,"axG",@progbits,_ZN7rocprim17ROCPRIM_400000_NS6detail17trampoline_kernelINS0_14default_configENS1_25partition_config_selectorILNS1_17partition_subalgoE9EllbEEZZNS1_14partition_implILS5_9ELb0ES3_jPKlN6thrust23THRUST_200600_302600_NS17counting_iteratorIlNSB_11use_defaultESD_SD_EEPNS0_10empty_typeENS0_5tupleIJPlSF_EEENSH_IJSI_SG_EEENS0_18inequality_wrapperIN6hipcub16HIPCUB_304000_NS8EqualityEEESI_JSF_EEE10hipError_tPvRmT3_T4_T5_T6_T7_T9_mT8_P12ihipStream_tbDpT10_ENKUlT_T0_E_clISt17integral_constantIbLb1EES18_IbLb0EEEEDaS14_S15_EUlS14_E_NS1_11comp_targetILNS1_3genE3ELNS1_11target_archE908ELNS1_3gpuE7ELNS1_3repE0EEENS1_30default_config_static_selectorELNS0_4arch9wavefront6targetE1EEEvT1_,comdat
	.protected	_ZN7rocprim17ROCPRIM_400000_NS6detail17trampoline_kernelINS0_14default_configENS1_25partition_config_selectorILNS1_17partition_subalgoE9EllbEEZZNS1_14partition_implILS5_9ELb0ES3_jPKlN6thrust23THRUST_200600_302600_NS17counting_iteratorIlNSB_11use_defaultESD_SD_EEPNS0_10empty_typeENS0_5tupleIJPlSF_EEENSH_IJSI_SG_EEENS0_18inequality_wrapperIN6hipcub16HIPCUB_304000_NS8EqualityEEESI_JSF_EEE10hipError_tPvRmT3_T4_T5_T6_T7_T9_mT8_P12ihipStream_tbDpT10_ENKUlT_T0_E_clISt17integral_constantIbLb1EES18_IbLb0EEEEDaS14_S15_EUlS14_E_NS1_11comp_targetILNS1_3genE3ELNS1_11target_archE908ELNS1_3gpuE7ELNS1_3repE0EEENS1_30default_config_static_selectorELNS0_4arch9wavefront6targetE1EEEvT1_ ; -- Begin function _ZN7rocprim17ROCPRIM_400000_NS6detail17trampoline_kernelINS0_14default_configENS1_25partition_config_selectorILNS1_17partition_subalgoE9EllbEEZZNS1_14partition_implILS5_9ELb0ES3_jPKlN6thrust23THRUST_200600_302600_NS17counting_iteratorIlNSB_11use_defaultESD_SD_EEPNS0_10empty_typeENS0_5tupleIJPlSF_EEENSH_IJSI_SG_EEENS0_18inequality_wrapperIN6hipcub16HIPCUB_304000_NS8EqualityEEESI_JSF_EEE10hipError_tPvRmT3_T4_T5_T6_T7_T9_mT8_P12ihipStream_tbDpT10_ENKUlT_T0_E_clISt17integral_constantIbLb1EES18_IbLb0EEEEDaS14_S15_EUlS14_E_NS1_11comp_targetILNS1_3genE3ELNS1_11target_archE908ELNS1_3gpuE7ELNS1_3repE0EEENS1_30default_config_static_selectorELNS0_4arch9wavefront6targetE1EEEvT1_
	.globl	_ZN7rocprim17ROCPRIM_400000_NS6detail17trampoline_kernelINS0_14default_configENS1_25partition_config_selectorILNS1_17partition_subalgoE9EllbEEZZNS1_14partition_implILS5_9ELb0ES3_jPKlN6thrust23THRUST_200600_302600_NS17counting_iteratorIlNSB_11use_defaultESD_SD_EEPNS0_10empty_typeENS0_5tupleIJPlSF_EEENSH_IJSI_SG_EEENS0_18inequality_wrapperIN6hipcub16HIPCUB_304000_NS8EqualityEEESI_JSF_EEE10hipError_tPvRmT3_T4_T5_T6_T7_T9_mT8_P12ihipStream_tbDpT10_ENKUlT_T0_E_clISt17integral_constantIbLb1EES18_IbLb0EEEEDaS14_S15_EUlS14_E_NS1_11comp_targetILNS1_3genE3ELNS1_11target_archE908ELNS1_3gpuE7ELNS1_3repE0EEENS1_30default_config_static_selectorELNS0_4arch9wavefront6targetE1EEEvT1_
	.p2align	8
	.type	_ZN7rocprim17ROCPRIM_400000_NS6detail17trampoline_kernelINS0_14default_configENS1_25partition_config_selectorILNS1_17partition_subalgoE9EllbEEZZNS1_14partition_implILS5_9ELb0ES3_jPKlN6thrust23THRUST_200600_302600_NS17counting_iteratorIlNSB_11use_defaultESD_SD_EEPNS0_10empty_typeENS0_5tupleIJPlSF_EEENSH_IJSI_SG_EEENS0_18inequality_wrapperIN6hipcub16HIPCUB_304000_NS8EqualityEEESI_JSF_EEE10hipError_tPvRmT3_T4_T5_T6_T7_T9_mT8_P12ihipStream_tbDpT10_ENKUlT_T0_E_clISt17integral_constantIbLb1EES18_IbLb0EEEEDaS14_S15_EUlS14_E_NS1_11comp_targetILNS1_3genE3ELNS1_11target_archE908ELNS1_3gpuE7ELNS1_3repE0EEENS1_30default_config_static_selectorELNS0_4arch9wavefront6targetE1EEEvT1_,@function
_ZN7rocprim17ROCPRIM_400000_NS6detail17trampoline_kernelINS0_14default_configENS1_25partition_config_selectorILNS1_17partition_subalgoE9EllbEEZZNS1_14partition_implILS5_9ELb0ES3_jPKlN6thrust23THRUST_200600_302600_NS17counting_iteratorIlNSB_11use_defaultESD_SD_EEPNS0_10empty_typeENS0_5tupleIJPlSF_EEENSH_IJSI_SG_EEENS0_18inequality_wrapperIN6hipcub16HIPCUB_304000_NS8EqualityEEESI_JSF_EEE10hipError_tPvRmT3_T4_T5_T6_T7_T9_mT8_P12ihipStream_tbDpT10_ENKUlT_T0_E_clISt17integral_constantIbLb1EES18_IbLb0EEEEDaS14_S15_EUlS14_E_NS1_11comp_targetILNS1_3genE3ELNS1_11target_archE908ELNS1_3gpuE7ELNS1_3repE0EEENS1_30default_config_static_selectorELNS0_4arch9wavefront6targetE1EEEvT1_: ; @_ZN7rocprim17ROCPRIM_400000_NS6detail17trampoline_kernelINS0_14default_configENS1_25partition_config_selectorILNS1_17partition_subalgoE9EllbEEZZNS1_14partition_implILS5_9ELb0ES3_jPKlN6thrust23THRUST_200600_302600_NS17counting_iteratorIlNSB_11use_defaultESD_SD_EEPNS0_10empty_typeENS0_5tupleIJPlSF_EEENSH_IJSI_SG_EEENS0_18inequality_wrapperIN6hipcub16HIPCUB_304000_NS8EqualityEEESI_JSF_EEE10hipError_tPvRmT3_T4_T5_T6_T7_T9_mT8_P12ihipStream_tbDpT10_ENKUlT_T0_E_clISt17integral_constantIbLb1EES18_IbLb0EEEEDaS14_S15_EUlS14_E_NS1_11comp_targetILNS1_3genE3ELNS1_11target_archE908ELNS1_3gpuE7ELNS1_3repE0EEENS1_30default_config_static_selectorELNS0_4arch9wavefront6targetE1EEEvT1_
; %bb.0:
	.section	.rodata,"a",@progbits
	.p2align	6, 0x0
	.amdhsa_kernel _ZN7rocprim17ROCPRIM_400000_NS6detail17trampoline_kernelINS0_14default_configENS1_25partition_config_selectorILNS1_17partition_subalgoE9EllbEEZZNS1_14partition_implILS5_9ELb0ES3_jPKlN6thrust23THRUST_200600_302600_NS17counting_iteratorIlNSB_11use_defaultESD_SD_EEPNS0_10empty_typeENS0_5tupleIJPlSF_EEENSH_IJSI_SG_EEENS0_18inequality_wrapperIN6hipcub16HIPCUB_304000_NS8EqualityEEESI_JSF_EEE10hipError_tPvRmT3_T4_T5_T6_T7_T9_mT8_P12ihipStream_tbDpT10_ENKUlT_T0_E_clISt17integral_constantIbLb1EES18_IbLb0EEEEDaS14_S15_EUlS14_E_NS1_11comp_targetILNS1_3genE3ELNS1_11target_archE908ELNS1_3gpuE7ELNS1_3repE0EEENS1_30default_config_static_selectorELNS0_4arch9wavefront6targetE1EEEvT1_
		.amdhsa_group_segment_fixed_size 0
		.amdhsa_private_segment_fixed_size 0
		.amdhsa_kernarg_size 112
		.amdhsa_user_sgpr_count 2
		.amdhsa_user_sgpr_dispatch_ptr 0
		.amdhsa_user_sgpr_queue_ptr 0
		.amdhsa_user_sgpr_kernarg_segment_ptr 1
		.amdhsa_user_sgpr_dispatch_id 0
		.amdhsa_user_sgpr_kernarg_preload_length 0
		.amdhsa_user_sgpr_kernarg_preload_offset 0
		.amdhsa_user_sgpr_private_segment_size 0
		.amdhsa_uses_dynamic_stack 0
		.amdhsa_enable_private_segment 0
		.amdhsa_system_sgpr_workgroup_id_x 1
		.amdhsa_system_sgpr_workgroup_id_y 0
		.amdhsa_system_sgpr_workgroup_id_z 0
		.amdhsa_system_sgpr_workgroup_info 0
		.amdhsa_system_vgpr_workitem_id 0
		.amdhsa_next_free_vgpr 1
		.amdhsa_next_free_sgpr 0
		.amdhsa_accum_offset 4
		.amdhsa_reserve_vcc 0
		.amdhsa_float_round_mode_32 0
		.amdhsa_float_round_mode_16_64 0
		.amdhsa_float_denorm_mode_32 3
		.amdhsa_float_denorm_mode_16_64 3
		.amdhsa_dx10_clamp 1
		.amdhsa_ieee_mode 1
		.amdhsa_fp16_overflow 0
		.amdhsa_tg_split 0
		.amdhsa_exception_fp_ieee_invalid_op 0
		.amdhsa_exception_fp_denorm_src 0
		.amdhsa_exception_fp_ieee_div_zero 0
		.amdhsa_exception_fp_ieee_overflow 0
		.amdhsa_exception_fp_ieee_underflow 0
		.amdhsa_exception_fp_ieee_inexact 0
		.amdhsa_exception_int_div_zero 0
	.end_amdhsa_kernel
	.section	.text._ZN7rocprim17ROCPRIM_400000_NS6detail17trampoline_kernelINS0_14default_configENS1_25partition_config_selectorILNS1_17partition_subalgoE9EllbEEZZNS1_14partition_implILS5_9ELb0ES3_jPKlN6thrust23THRUST_200600_302600_NS17counting_iteratorIlNSB_11use_defaultESD_SD_EEPNS0_10empty_typeENS0_5tupleIJPlSF_EEENSH_IJSI_SG_EEENS0_18inequality_wrapperIN6hipcub16HIPCUB_304000_NS8EqualityEEESI_JSF_EEE10hipError_tPvRmT3_T4_T5_T6_T7_T9_mT8_P12ihipStream_tbDpT10_ENKUlT_T0_E_clISt17integral_constantIbLb1EES18_IbLb0EEEEDaS14_S15_EUlS14_E_NS1_11comp_targetILNS1_3genE3ELNS1_11target_archE908ELNS1_3gpuE7ELNS1_3repE0EEENS1_30default_config_static_selectorELNS0_4arch9wavefront6targetE1EEEvT1_,"axG",@progbits,_ZN7rocprim17ROCPRIM_400000_NS6detail17trampoline_kernelINS0_14default_configENS1_25partition_config_selectorILNS1_17partition_subalgoE9EllbEEZZNS1_14partition_implILS5_9ELb0ES3_jPKlN6thrust23THRUST_200600_302600_NS17counting_iteratorIlNSB_11use_defaultESD_SD_EEPNS0_10empty_typeENS0_5tupleIJPlSF_EEENSH_IJSI_SG_EEENS0_18inequality_wrapperIN6hipcub16HIPCUB_304000_NS8EqualityEEESI_JSF_EEE10hipError_tPvRmT3_T4_T5_T6_T7_T9_mT8_P12ihipStream_tbDpT10_ENKUlT_T0_E_clISt17integral_constantIbLb1EES18_IbLb0EEEEDaS14_S15_EUlS14_E_NS1_11comp_targetILNS1_3genE3ELNS1_11target_archE908ELNS1_3gpuE7ELNS1_3repE0EEENS1_30default_config_static_selectorELNS0_4arch9wavefront6targetE1EEEvT1_,comdat
.Lfunc_end63:
	.size	_ZN7rocprim17ROCPRIM_400000_NS6detail17trampoline_kernelINS0_14default_configENS1_25partition_config_selectorILNS1_17partition_subalgoE9EllbEEZZNS1_14partition_implILS5_9ELb0ES3_jPKlN6thrust23THRUST_200600_302600_NS17counting_iteratorIlNSB_11use_defaultESD_SD_EEPNS0_10empty_typeENS0_5tupleIJPlSF_EEENSH_IJSI_SG_EEENS0_18inequality_wrapperIN6hipcub16HIPCUB_304000_NS8EqualityEEESI_JSF_EEE10hipError_tPvRmT3_T4_T5_T6_T7_T9_mT8_P12ihipStream_tbDpT10_ENKUlT_T0_E_clISt17integral_constantIbLb1EES18_IbLb0EEEEDaS14_S15_EUlS14_E_NS1_11comp_targetILNS1_3genE3ELNS1_11target_archE908ELNS1_3gpuE7ELNS1_3repE0EEENS1_30default_config_static_selectorELNS0_4arch9wavefront6targetE1EEEvT1_, .Lfunc_end63-_ZN7rocprim17ROCPRIM_400000_NS6detail17trampoline_kernelINS0_14default_configENS1_25partition_config_selectorILNS1_17partition_subalgoE9EllbEEZZNS1_14partition_implILS5_9ELb0ES3_jPKlN6thrust23THRUST_200600_302600_NS17counting_iteratorIlNSB_11use_defaultESD_SD_EEPNS0_10empty_typeENS0_5tupleIJPlSF_EEENSH_IJSI_SG_EEENS0_18inequality_wrapperIN6hipcub16HIPCUB_304000_NS8EqualityEEESI_JSF_EEE10hipError_tPvRmT3_T4_T5_T6_T7_T9_mT8_P12ihipStream_tbDpT10_ENKUlT_T0_E_clISt17integral_constantIbLb1EES18_IbLb0EEEEDaS14_S15_EUlS14_E_NS1_11comp_targetILNS1_3genE3ELNS1_11target_archE908ELNS1_3gpuE7ELNS1_3repE0EEENS1_30default_config_static_selectorELNS0_4arch9wavefront6targetE1EEEvT1_
                                        ; -- End function
	.section	.AMDGPU.csdata,"",@progbits
; Kernel info:
; codeLenInByte = 0
; NumSgprs: 6
; NumVgprs: 0
; NumAgprs: 0
; TotalNumVgprs: 0
; ScratchSize: 0
; MemoryBound: 0
; FloatMode: 240
; IeeeMode: 1
; LDSByteSize: 0 bytes/workgroup (compile time only)
; SGPRBlocks: 0
; VGPRBlocks: 0
; NumSGPRsForWavesPerEU: 6
; NumVGPRsForWavesPerEU: 1
; AccumOffset: 4
; Occupancy: 8
; WaveLimiterHint : 0
; COMPUTE_PGM_RSRC2:SCRATCH_EN: 0
; COMPUTE_PGM_RSRC2:USER_SGPR: 2
; COMPUTE_PGM_RSRC2:TRAP_HANDLER: 0
; COMPUTE_PGM_RSRC2:TGID_X_EN: 1
; COMPUTE_PGM_RSRC2:TGID_Y_EN: 0
; COMPUTE_PGM_RSRC2:TGID_Z_EN: 0
; COMPUTE_PGM_RSRC2:TIDIG_COMP_CNT: 0
; COMPUTE_PGM_RSRC3_GFX90A:ACCUM_OFFSET: 0
; COMPUTE_PGM_RSRC3_GFX90A:TG_SPLIT: 0
	.section	.text._ZN7rocprim17ROCPRIM_400000_NS6detail17trampoline_kernelINS0_14default_configENS1_25partition_config_selectorILNS1_17partition_subalgoE9EllbEEZZNS1_14partition_implILS5_9ELb0ES3_jPKlN6thrust23THRUST_200600_302600_NS17counting_iteratorIlNSB_11use_defaultESD_SD_EEPNS0_10empty_typeENS0_5tupleIJPlSF_EEENSH_IJSI_SG_EEENS0_18inequality_wrapperIN6hipcub16HIPCUB_304000_NS8EqualityEEESI_JSF_EEE10hipError_tPvRmT3_T4_T5_T6_T7_T9_mT8_P12ihipStream_tbDpT10_ENKUlT_T0_E_clISt17integral_constantIbLb1EES18_IbLb0EEEEDaS14_S15_EUlS14_E_NS1_11comp_targetILNS1_3genE2ELNS1_11target_archE906ELNS1_3gpuE6ELNS1_3repE0EEENS1_30default_config_static_selectorELNS0_4arch9wavefront6targetE1EEEvT1_,"axG",@progbits,_ZN7rocprim17ROCPRIM_400000_NS6detail17trampoline_kernelINS0_14default_configENS1_25partition_config_selectorILNS1_17partition_subalgoE9EllbEEZZNS1_14partition_implILS5_9ELb0ES3_jPKlN6thrust23THRUST_200600_302600_NS17counting_iteratorIlNSB_11use_defaultESD_SD_EEPNS0_10empty_typeENS0_5tupleIJPlSF_EEENSH_IJSI_SG_EEENS0_18inequality_wrapperIN6hipcub16HIPCUB_304000_NS8EqualityEEESI_JSF_EEE10hipError_tPvRmT3_T4_T5_T6_T7_T9_mT8_P12ihipStream_tbDpT10_ENKUlT_T0_E_clISt17integral_constantIbLb1EES18_IbLb0EEEEDaS14_S15_EUlS14_E_NS1_11comp_targetILNS1_3genE2ELNS1_11target_archE906ELNS1_3gpuE6ELNS1_3repE0EEENS1_30default_config_static_selectorELNS0_4arch9wavefront6targetE1EEEvT1_,comdat
	.protected	_ZN7rocprim17ROCPRIM_400000_NS6detail17trampoline_kernelINS0_14default_configENS1_25partition_config_selectorILNS1_17partition_subalgoE9EllbEEZZNS1_14partition_implILS5_9ELb0ES3_jPKlN6thrust23THRUST_200600_302600_NS17counting_iteratorIlNSB_11use_defaultESD_SD_EEPNS0_10empty_typeENS0_5tupleIJPlSF_EEENSH_IJSI_SG_EEENS0_18inequality_wrapperIN6hipcub16HIPCUB_304000_NS8EqualityEEESI_JSF_EEE10hipError_tPvRmT3_T4_T5_T6_T7_T9_mT8_P12ihipStream_tbDpT10_ENKUlT_T0_E_clISt17integral_constantIbLb1EES18_IbLb0EEEEDaS14_S15_EUlS14_E_NS1_11comp_targetILNS1_3genE2ELNS1_11target_archE906ELNS1_3gpuE6ELNS1_3repE0EEENS1_30default_config_static_selectorELNS0_4arch9wavefront6targetE1EEEvT1_ ; -- Begin function _ZN7rocprim17ROCPRIM_400000_NS6detail17trampoline_kernelINS0_14default_configENS1_25partition_config_selectorILNS1_17partition_subalgoE9EllbEEZZNS1_14partition_implILS5_9ELb0ES3_jPKlN6thrust23THRUST_200600_302600_NS17counting_iteratorIlNSB_11use_defaultESD_SD_EEPNS0_10empty_typeENS0_5tupleIJPlSF_EEENSH_IJSI_SG_EEENS0_18inequality_wrapperIN6hipcub16HIPCUB_304000_NS8EqualityEEESI_JSF_EEE10hipError_tPvRmT3_T4_T5_T6_T7_T9_mT8_P12ihipStream_tbDpT10_ENKUlT_T0_E_clISt17integral_constantIbLb1EES18_IbLb0EEEEDaS14_S15_EUlS14_E_NS1_11comp_targetILNS1_3genE2ELNS1_11target_archE906ELNS1_3gpuE6ELNS1_3repE0EEENS1_30default_config_static_selectorELNS0_4arch9wavefront6targetE1EEEvT1_
	.globl	_ZN7rocprim17ROCPRIM_400000_NS6detail17trampoline_kernelINS0_14default_configENS1_25partition_config_selectorILNS1_17partition_subalgoE9EllbEEZZNS1_14partition_implILS5_9ELb0ES3_jPKlN6thrust23THRUST_200600_302600_NS17counting_iteratorIlNSB_11use_defaultESD_SD_EEPNS0_10empty_typeENS0_5tupleIJPlSF_EEENSH_IJSI_SG_EEENS0_18inequality_wrapperIN6hipcub16HIPCUB_304000_NS8EqualityEEESI_JSF_EEE10hipError_tPvRmT3_T4_T5_T6_T7_T9_mT8_P12ihipStream_tbDpT10_ENKUlT_T0_E_clISt17integral_constantIbLb1EES18_IbLb0EEEEDaS14_S15_EUlS14_E_NS1_11comp_targetILNS1_3genE2ELNS1_11target_archE906ELNS1_3gpuE6ELNS1_3repE0EEENS1_30default_config_static_selectorELNS0_4arch9wavefront6targetE1EEEvT1_
	.p2align	8
	.type	_ZN7rocprim17ROCPRIM_400000_NS6detail17trampoline_kernelINS0_14default_configENS1_25partition_config_selectorILNS1_17partition_subalgoE9EllbEEZZNS1_14partition_implILS5_9ELb0ES3_jPKlN6thrust23THRUST_200600_302600_NS17counting_iteratorIlNSB_11use_defaultESD_SD_EEPNS0_10empty_typeENS0_5tupleIJPlSF_EEENSH_IJSI_SG_EEENS0_18inequality_wrapperIN6hipcub16HIPCUB_304000_NS8EqualityEEESI_JSF_EEE10hipError_tPvRmT3_T4_T5_T6_T7_T9_mT8_P12ihipStream_tbDpT10_ENKUlT_T0_E_clISt17integral_constantIbLb1EES18_IbLb0EEEEDaS14_S15_EUlS14_E_NS1_11comp_targetILNS1_3genE2ELNS1_11target_archE906ELNS1_3gpuE6ELNS1_3repE0EEENS1_30default_config_static_selectorELNS0_4arch9wavefront6targetE1EEEvT1_,@function
_ZN7rocprim17ROCPRIM_400000_NS6detail17trampoline_kernelINS0_14default_configENS1_25partition_config_selectorILNS1_17partition_subalgoE9EllbEEZZNS1_14partition_implILS5_9ELb0ES3_jPKlN6thrust23THRUST_200600_302600_NS17counting_iteratorIlNSB_11use_defaultESD_SD_EEPNS0_10empty_typeENS0_5tupleIJPlSF_EEENSH_IJSI_SG_EEENS0_18inequality_wrapperIN6hipcub16HIPCUB_304000_NS8EqualityEEESI_JSF_EEE10hipError_tPvRmT3_T4_T5_T6_T7_T9_mT8_P12ihipStream_tbDpT10_ENKUlT_T0_E_clISt17integral_constantIbLb1EES18_IbLb0EEEEDaS14_S15_EUlS14_E_NS1_11comp_targetILNS1_3genE2ELNS1_11target_archE906ELNS1_3gpuE6ELNS1_3repE0EEENS1_30default_config_static_selectorELNS0_4arch9wavefront6targetE1EEEvT1_: ; @_ZN7rocprim17ROCPRIM_400000_NS6detail17trampoline_kernelINS0_14default_configENS1_25partition_config_selectorILNS1_17partition_subalgoE9EllbEEZZNS1_14partition_implILS5_9ELb0ES3_jPKlN6thrust23THRUST_200600_302600_NS17counting_iteratorIlNSB_11use_defaultESD_SD_EEPNS0_10empty_typeENS0_5tupleIJPlSF_EEENSH_IJSI_SG_EEENS0_18inequality_wrapperIN6hipcub16HIPCUB_304000_NS8EqualityEEESI_JSF_EEE10hipError_tPvRmT3_T4_T5_T6_T7_T9_mT8_P12ihipStream_tbDpT10_ENKUlT_T0_E_clISt17integral_constantIbLb1EES18_IbLb0EEEEDaS14_S15_EUlS14_E_NS1_11comp_targetILNS1_3genE2ELNS1_11target_archE906ELNS1_3gpuE6ELNS1_3repE0EEENS1_30default_config_static_selectorELNS0_4arch9wavefront6targetE1EEEvT1_
; %bb.0:
	.section	.rodata,"a",@progbits
	.p2align	6, 0x0
	.amdhsa_kernel _ZN7rocprim17ROCPRIM_400000_NS6detail17trampoline_kernelINS0_14default_configENS1_25partition_config_selectorILNS1_17partition_subalgoE9EllbEEZZNS1_14partition_implILS5_9ELb0ES3_jPKlN6thrust23THRUST_200600_302600_NS17counting_iteratorIlNSB_11use_defaultESD_SD_EEPNS0_10empty_typeENS0_5tupleIJPlSF_EEENSH_IJSI_SG_EEENS0_18inequality_wrapperIN6hipcub16HIPCUB_304000_NS8EqualityEEESI_JSF_EEE10hipError_tPvRmT3_T4_T5_T6_T7_T9_mT8_P12ihipStream_tbDpT10_ENKUlT_T0_E_clISt17integral_constantIbLb1EES18_IbLb0EEEEDaS14_S15_EUlS14_E_NS1_11comp_targetILNS1_3genE2ELNS1_11target_archE906ELNS1_3gpuE6ELNS1_3repE0EEENS1_30default_config_static_selectorELNS0_4arch9wavefront6targetE1EEEvT1_
		.amdhsa_group_segment_fixed_size 0
		.amdhsa_private_segment_fixed_size 0
		.amdhsa_kernarg_size 112
		.amdhsa_user_sgpr_count 2
		.amdhsa_user_sgpr_dispatch_ptr 0
		.amdhsa_user_sgpr_queue_ptr 0
		.amdhsa_user_sgpr_kernarg_segment_ptr 1
		.amdhsa_user_sgpr_dispatch_id 0
		.amdhsa_user_sgpr_kernarg_preload_length 0
		.amdhsa_user_sgpr_kernarg_preload_offset 0
		.amdhsa_user_sgpr_private_segment_size 0
		.amdhsa_uses_dynamic_stack 0
		.amdhsa_enable_private_segment 0
		.amdhsa_system_sgpr_workgroup_id_x 1
		.amdhsa_system_sgpr_workgroup_id_y 0
		.amdhsa_system_sgpr_workgroup_id_z 0
		.amdhsa_system_sgpr_workgroup_info 0
		.amdhsa_system_vgpr_workitem_id 0
		.amdhsa_next_free_vgpr 1
		.amdhsa_next_free_sgpr 0
		.amdhsa_accum_offset 4
		.amdhsa_reserve_vcc 0
		.amdhsa_float_round_mode_32 0
		.amdhsa_float_round_mode_16_64 0
		.amdhsa_float_denorm_mode_32 3
		.amdhsa_float_denorm_mode_16_64 3
		.amdhsa_dx10_clamp 1
		.amdhsa_ieee_mode 1
		.amdhsa_fp16_overflow 0
		.amdhsa_tg_split 0
		.amdhsa_exception_fp_ieee_invalid_op 0
		.amdhsa_exception_fp_denorm_src 0
		.amdhsa_exception_fp_ieee_div_zero 0
		.amdhsa_exception_fp_ieee_overflow 0
		.amdhsa_exception_fp_ieee_underflow 0
		.amdhsa_exception_fp_ieee_inexact 0
		.amdhsa_exception_int_div_zero 0
	.end_amdhsa_kernel
	.section	.text._ZN7rocprim17ROCPRIM_400000_NS6detail17trampoline_kernelINS0_14default_configENS1_25partition_config_selectorILNS1_17partition_subalgoE9EllbEEZZNS1_14partition_implILS5_9ELb0ES3_jPKlN6thrust23THRUST_200600_302600_NS17counting_iteratorIlNSB_11use_defaultESD_SD_EEPNS0_10empty_typeENS0_5tupleIJPlSF_EEENSH_IJSI_SG_EEENS0_18inequality_wrapperIN6hipcub16HIPCUB_304000_NS8EqualityEEESI_JSF_EEE10hipError_tPvRmT3_T4_T5_T6_T7_T9_mT8_P12ihipStream_tbDpT10_ENKUlT_T0_E_clISt17integral_constantIbLb1EES18_IbLb0EEEEDaS14_S15_EUlS14_E_NS1_11comp_targetILNS1_3genE2ELNS1_11target_archE906ELNS1_3gpuE6ELNS1_3repE0EEENS1_30default_config_static_selectorELNS0_4arch9wavefront6targetE1EEEvT1_,"axG",@progbits,_ZN7rocprim17ROCPRIM_400000_NS6detail17trampoline_kernelINS0_14default_configENS1_25partition_config_selectorILNS1_17partition_subalgoE9EllbEEZZNS1_14partition_implILS5_9ELb0ES3_jPKlN6thrust23THRUST_200600_302600_NS17counting_iteratorIlNSB_11use_defaultESD_SD_EEPNS0_10empty_typeENS0_5tupleIJPlSF_EEENSH_IJSI_SG_EEENS0_18inequality_wrapperIN6hipcub16HIPCUB_304000_NS8EqualityEEESI_JSF_EEE10hipError_tPvRmT3_T4_T5_T6_T7_T9_mT8_P12ihipStream_tbDpT10_ENKUlT_T0_E_clISt17integral_constantIbLb1EES18_IbLb0EEEEDaS14_S15_EUlS14_E_NS1_11comp_targetILNS1_3genE2ELNS1_11target_archE906ELNS1_3gpuE6ELNS1_3repE0EEENS1_30default_config_static_selectorELNS0_4arch9wavefront6targetE1EEEvT1_,comdat
.Lfunc_end64:
	.size	_ZN7rocprim17ROCPRIM_400000_NS6detail17trampoline_kernelINS0_14default_configENS1_25partition_config_selectorILNS1_17partition_subalgoE9EllbEEZZNS1_14partition_implILS5_9ELb0ES3_jPKlN6thrust23THRUST_200600_302600_NS17counting_iteratorIlNSB_11use_defaultESD_SD_EEPNS0_10empty_typeENS0_5tupleIJPlSF_EEENSH_IJSI_SG_EEENS0_18inequality_wrapperIN6hipcub16HIPCUB_304000_NS8EqualityEEESI_JSF_EEE10hipError_tPvRmT3_T4_T5_T6_T7_T9_mT8_P12ihipStream_tbDpT10_ENKUlT_T0_E_clISt17integral_constantIbLb1EES18_IbLb0EEEEDaS14_S15_EUlS14_E_NS1_11comp_targetILNS1_3genE2ELNS1_11target_archE906ELNS1_3gpuE6ELNS1_3repE0EEENS1_30default_config_static_selectorELNS0_4arch9wavefront6targetE1EEEvT1_, .Lfunc_end64-_ZN7rocprim17ROCPRIM_400000_NS6detail17trampoline_kernelINS0_14default_configENS1_25partition_config_selectorILNS1_17partition_subalgoE9EllbEEZZNS1_14partition_implILS5_9ELb0ES3_jPKlN6thrust23THRUST_200600_302600_NS17counting_iteratorIlNSB_11use_defaultESD_SD_EEPNS0_10empty_typeENS0_5tupleIJPlSF_EEENSH_IJSI_SG_EEENS0_18inequality_wrapperIN6hipcub16HIPCUB_304000_NS8EqualityEEESI_JSF_EEE10hipError_tPvRmT3_T4_T5_T6_T7_T9_mT8_P12ihipStream_tbDpT10_ENKUlT_T0_E_clISt17integral_constantIbLb1EES18_IbLb0EEEEDaS14_S15_EUlS14_E_NS1_11comp_targetILNS1_3genE2ELNS1_11target_archE906ELNS1_3gpuE6ELNS1_3repE0EEENS1_30default_config_static_selectorELNS0_4arch9wavefront6targetE1EEEvT1_
                                        ; -- End function
	.section	.AMDGPU.csdata,"",@progbits
; Kernel info:
; codeLenInByte = 0
; NumSgprs: 6
; NumVgprs: 0
; NumAgprs: 0
; TotalNumVgprs: 0
; ScratchSize: 0
; MemoryBound: 0
; FloatMode: 240
; IeeeMode: 1
; LDSByteSize: 0 bytes/workgroup (compile time only)
; SGPRBlocks: 0
; VGPRBlocks: 0
; NumSGPRsForWavesPerEU: 6
; NumVGPRsForWavesPerEU: 1
; AccumOffset: 4
; Occupancy: 8
; WaveLimiterHint : 0
; COMPUTE_PGM_RSRC2:SCRATCH_EN: 0
; COMPUTE_PGM_RSRC2:USER_SGPR: 2
; COMPUTE_PGM_RSRC2:TRAP_HANDLER: 0
; COMPUTE_PGM_RSRC2:TGID_X_EN: 1
; COMPUTE_PGM_RSRC2:TGID_Y_EN: 0
; COMPUTE_PGM_RSRC2:TGID_Z_EN: 0
; COMPUTE_PGM_RSRC2:TIDIG_COMP_CNT: 0
; COMPUTE_PGM_RSRC3_GFX90A:ACCUM_OFFSET: 0
; COMPUTE_PGM_RSRC3_GFX90A:TG_SPLIT: 0
	.section	.text._ZN7rocprim17ROCPRIM_400000_NS6detail17trampoline_kernelINS0_14default_configENS1_25partition_config_selectorILNS1_17partition_subalgoE9EllbEEZZNS1_14partition_implILS5_9ELb0ES3_jPKlN6thrust23THRUST_200600_302600_NS17counting_iteratorIlNSB_11use_defaultESD_SD_EEPNS0_10empty_typeENS0_5tupleIJPlSF_EEENSH_IJSI_SG_EEENS0_18inequality_wrapperIN6hipcub16HIPCUB_304000_NS8EqualityEEESI_JSF_EEE10hipError_tPvRmT3_T4_T5_T6_T7_T9_mT8_P12ihipStream_tbDpT10_ENKUlT_T0_E_clISt17integral_constantIbLb1EES18_IbLb0EEEEDaS14_S15_EUlS14_E_NS1_11comp_targetILNS1_3genE10ELNS1_11target_archE1200ELNS1_3gpuE4ELNS1_3repE0EEENS1_30default_config_static_selectorELNS0_4arch9wavefront6targetE1EEEvT1_,"axG",@progbits,_ZN7rocprim17ROCPRIM_400000_NS6detail17trampoline_kernelINS0_14default_configENS1_25partition_config_selectorILNS1_17partition_subalgoE9EllbEEZZNS1_14partition_implILS5_9ELb0ES3_jPKlN6thrust23THRUST_200600_302600_NS17counting_iteratorIlNSB_11use_defaultESD_SD_EEPNS0_10empty_typeENS0_5tupleIJPlSF_EEENSH_IJSI_SG_EEENS0_18inequality_wrapperIN6hipcub16HIPCUB_304000_NS8EqualityEEESI_JSF_EEE10hipError_tPvRmT3_T4_T5_T6_T7_T9_mT8_P12ihipStream_tbDpT10_ENKUlT_T0_E_clISt17integral_constantIbLb1EES18_IbLb0EEEEDaS14_S15_EUlS14_E_NS1_11comp_targetILNS1_3genE10ELNS1_11target_archE1200ELNS1_3gpuE4ELNS1_3repE0EEENS1_30default_config_static_selectorELNS0_4arch9wavefront6targetE1EEEvT1_,comdat
	.protected	_ZN7rocprim17ROCPRIM_400000_NS6detail17trampoline_kernelINS0_14default_configENS1_25partition_config_selectorILNS1_17partition_subalgoE9EllbEEZZNS1_14partition_implILS5_9ELb0ES3_jPKlN6thrust23THRUST_200600_302600_NS17counting_iteratorIlNSB_11use_defaultESD_SD_EEPNS0_10empty_typeENS0_5tupleIJPlSF_EEENSH_IJSI_SG_EEENS0_18inequality_wrapperIN6hipcub16HIPCUB_304000_NS8EqualityEEESI_JSF_EEE10hipError_tPvRmT3_T4_T5_T6_T7_T9_mT8_P12ihipStream_tbDpT10_ENKUlT_T0_E_clISt17integral_constantIbLb1EES18_IbLb0EEEEDaS14_S15_EUlS14_E_NS1_11comp_targetILNS1_3genE10ELNS1_11target_archE1200ELNS1_3gpuE4ELNS1_3repE0EEENS1_30default_config_static_selectorELNS0_4arch9wavefront6targetE1EEEvT1_ ; -- Begin function _ZN7rocprim17ROCPRIM_400000_NS6detail17trampoline_kernelINS0_14default_configENS1_25partition_config_selectorILNS1_17partition_subalgoE9EllbEEZZNS1_14partition_implILS5_9ELb0ES3_jPKlN6thrust23THRUST_200600_302600_NS17counting_iteratorIlNSB_11use_defaultESD_SD_EEPNS0_10empty_typeENS0_5tupleIJPlSF_EEENSH_IJSI_SG_EEENS0_18inequality_wrapperIN6hipcub16HIPCUB_304000_NS8EqualityEEESI_JSF_EEE10hipError_tPvRmT3_T4_T5_T6_T7_T9_mT8_P12ihipStream_tbDpT10_ENKUlT_T0_E_clISt17integral_constantIbLb1EES18_IbLb0EEEEDaS14_S15_EUlS14_E_NS1_11comp_targetILNS1_3genE10ELNS1_11target_archE1200ELNS1_3gpuE4ELNS1_3repE0EEENS1_30default_config_static_selectorELNS0_4arch9wavefront6targetE1EEEvT1_
	.globl	_ZN7rocprim17ROCPRIM_400000_NS6detail17trampoline_kernelINS0_14default_configENS1_25partition_config_selectorILNS1_17partition_subalgoE9EllbEEZZNS1_14partition_implILS5_9ELb0ES3_jPKlN6thrust23THRUST_200600_302600_NS17counting_iteratorIlNSB_11use_defaultESD_SD_EEPNS0_10empty_typeENS0_5tupleIJPlSF_EEENSH_IJSI_SG_EEENS0_18inequality_wrapperIN6hipcub16HIPCUB_304000_NS8EqualityEEESI_JSF_EEE10hipError_tPvRmT3_T4_T5_T6_T7_T9_mT8_P12ihipStream_tbDpT10_ENKUlT_T0_E_clISt17integral_constantIbLb1EES18_IbLb0EEEEDaS14_S15_EUlS14_E_NS1_11comp_targetILNS1_3genE10ELNS1_11target_archE1200ELNS1_3gpuE4ELNS1_3repE0EEENS1_30default_config_static_selectorELNS0_4arch9wavefront6targetE1EEEvT1_
	.p2align	8
	.type	_ZN7rocprim17ROCPRIM_400000_NS6detail17trampoline_kernelINS0_14default_configENS1_25partition_config_selectorILNS1_17partition_subalgoE9EllbEEZZNS1_14partition_implILS5_9ELb0ES3_jPKlN6thrust23THRUST_200600_302600_NS17counting_iteratorIlNSB_11use_defaultESD_SD_EEPNS0_10empty_typeENS0_5tupleIJPlSF_EEENSH_IJSI_SG_EEENS0_18inequality_wrapperIN6hipcub16HIPCUB_304000_NS8EqualityEEESI_JSF_EEE10hipError_tPvRmT3_T4_T5_T6_T7_T9_mT8_P12ihipStream_tbDpT10_ENKUlT_T0_E_clISt17integral_constantIbLb1EES18_IbLb0EEEEDaS14_S15_EUlS14_E_NS1_11comp_targetILNS1_3genE10ELNS1_11target_archE1200ELNS1_3gpuE4ELNS1_3repE0EEENS1_30default_config_static_selectorELNS0_4arch9wavefront6targetE1EEEvT1_,@function
_ZN7rocprim17ROCPRIM_400000_NS6detail17trampoline_kernelINS0_14default_configENS1_25partition_config_selectorILNS1_17partition_subalgoE9EllbEEZZNS1_14partition_implILS5_9ELb0ES3_jPKlN6thrust23THRUST_200600_302600_NS17counting_iteratorIlNSB_11use_defaultESD_SD_EEPNS0_10empty_typeENS0_5tupleIJPlSF_EEENSH_IJSI_SG_EEENS0_18inequality_wrapperIN6hipcub16HIPCUB_304000_NS8EqualityEEESI_JSF_EEE10hipError_tPvRmT3_T4_T5_T6_T7_T9_mT8_P12ihipStream_tbDpT10_ENKUlT_T0_E_clISt17integral_constantIbLb1EES18_IbLb0EEEEDaS14_S15_EUlS14_E_NS1_11comp_targetILNS1_3genE10ELNS1_11target_archE1200ELNS1_3gpuE4ELNS1_3repE0EEENS1_30default_config_static_selectorELNS0_4arch9wavefront6targetE1EEEvT1_: ; @_ZN7rocprim17ROCPRIM_400000_NS6detail17trampoline_kernelINS0_14default_configENS1_25partition_config_selectorILNS1_17partition_subalgoE9EllbEEZZNS1_14partition_implILS5_9ELb0ES3_jPKlN6thrust23THRUST_200600_302600_NS17counting_iteratorIlNSB_11use_defaultESD_SD_EEPNS0_10empty_typeENS0_5tupleIJPlSF_EEENSH_IJSI_SG_EEENS0_18inequality_wrapperIN6hipcub16HIPCUB_304000_NS8EqualityEEESI_JSF_EEE10hipError_tPvRmT3_T4_T5_T6_T7_T9_mT8_P12ihipStream_tbDpT10_ENKUlT_T0_E_clISt17integral_constantIbLb1EES18_IbLb0EEEEDaS14_S15_EUlS14_E_NS1_11comp_targetILNS1_3genE10ELNS1_11target_archE1200ELNS1_3gpuE4ELNS1_3repE0EEENS1_30default_config_static_selectorELNS0_4arch9wavefront6targetE1EEEvT1_
; %bb.0:
	.section	.rodata,"a",@progbits
	.p2align	6, 0x0
	.amdhsa_kernel _ZN7rocprim17ROCPRIM_400000_NS6detail17trampoline_kernelINS0_14default_configENS1_25partition_config_selectorILNS1_17partition_subalgoE9EllbEEZZNS1_14partition_implILS5_9ELb0ES3_jPKlN6thrust23THRUST_200600_302600_NS17counting_iteratorIlNSB_11use_defaultESD_SD_EEPNS0_10empty_typeENS0_5tupleIJPlSF_EEENSH_IJSI_SG_EEENS0_18inequality_wrapperIN6hipcub16HIPCUB_304000_NS8EqualityEEESI_JSF_EEE10hipError_tPvRmT3_T4_T5_T6_T7_T9_mT8_P12ihipStream_tbDpT10_ENKUlT_T0_E_clISt17integral_constantIbLb1EES18_IbLb0EEEEDaS14_S15_EUlS14_E_NS1_11comp_targetILNS1_3genE10ELNS1_11target_archE1200ELNS1_3gpuE4ELNS1_3repE0EEENS1_30default_config_static_selectorELNS0_4arch9wavefront6targetE1EEEvT1_
		.amdhsa_group_segment_fixed_size 0
		.amdhsa_private_segment_fixed_size 0
		.amdhsa_kernarg_size 112
		.amdhsa_user_sgpr_count 2
		.amdhsa_user_sgpr_dispatch_ptr 0
		.amdhsa_user_sgpr_queue_ptr 0
		.amdhsa_user_sgpr_kernarg_segment_ptr 1
		.amdhsa_user_sgpr_dispatch_id 0
		.amdhsa_user_sgpr_kernarg_preload_length 0
		.amdhsa_user_sgpr_kernarg_preload_offset 0
		.amdhsa_user_sgpr_private_segment_size 0
		.amdhsa_uses_dynamic_stack 0
		.amdhsa_enable_private_segment 0
		.amdhsa_system_sgpr_workgroup_id_x 1
		.amdhsa_system_sgpr_workgroup_id_y 0
		.amdhsa_system_sgpr_workgroup_id_z 0
		.amdhsa_system_sgpr_workgroup_info 0
		.amdhsa_system_vgpr_workitem_id 0
		.amdhsa_next_free_vgpr 1
		.amdhsa_next_free_sgpr 0
		.amdhsa_accum_offset 4
		.amdhsa_reserve_vcc 0
		.amdhsa_float_round_mode_32 0
		.amdhsa_float_round_mode_16_64 0
		.amdhsa_float_denorm_mode_32 3
		.amdhsa_float_denorm_mode_16_64 3
		.amdhsa_dx10_clamp 1
		.amdhsa_ieee_mode 1
		.amdhsa_fp16_overflow 0
		.amdhsa_tg_split 0
		.amdhsa_exception_fp_ieee_invalid_op 0
		.amdhsa_exception_fp_denorm_src 0
		.amdhsa_exception_fp_ieee_div_zero 0
		.amdhsa_exception_fp_ieee_overflow 0
		.amdhsa_exception_fp_ieee_underflow 0
		.amdhsa_exception_fp_ieee_inexact 0
		.amdhsa_exception_int_div_zero 0
	.end_amdhsa_kernel
	.section	.text._ZN7rocprim17ROCPRIM_400000_NS6detail17trampoline_kernelINS0_14default_configENS1_25partition_config_selectorILNS1_17partition_subalgoE9EllbEEZZNS1_14partition_implILS5_9ELb0ES3_jPKlN6thrust23THRUST_200600_302600_NS17counting_iteratorIlNSB_11use_defaultESD_SD_EEPNS0_10empty_typeENS0_5tupleIJPlSF_EEENSH_IJSI_SG_EEENS0_18inequality_wrapperIN6hipcub16HIPCUB_304000_NS8EqualityEEESI_JSF_EEE10hipError_tPvRmT3_T4_T5_T6_T7_T9_mT8_P12ihipStream_tbDpT10_ENKUlT_T0_E_clISt17integral_constantIbLb1EES18_IbLb0EEEEDaS14_S15_EUlS14_E_NS1_11comp_targetILNS1_3genE10ELNS1_11target_archE1200ELNS1_3gpuE4ELNS1_3repE0EEENS1_30default_config_static_selectorELNS0_4arch9wavefront6targetE1EEEvT1_,"axG",@progbits,_ZN7rocprim17ROCPRIM_400000_NS6detail17trampoline_kernelINS0_14default_configENS1_25partition_config_selectorILNS1_17partition_subalgoE9EllbEEZZNS1_14partition_implILS5_9ELb0ES3_jPKlN6thrust23THRUST_200600_302600_NS17counting_iteratorIlNSB_11use_defaultESD_SD_EEPNS0_10empty_typeENS0_5tupleIJPlSF_EEENSH_IJSI_SG_EEENS0_18inequality_wrapperIN6hipcub16HIPCUB_304000_NS8EqualityEEESI_JSF_EEE10hipError_tPvRmT3_T4_T5_T6_T7_T9_mT8_P12ihipStream_tbDpT10_ENKUlT_T0_E_clISt17integral_constantIbLb1EES18_IbLb0EEEEDaS14_S15_EUlS14_E_NS1_11comp_targetILNS1_3genE10ELNS1_11target_archE1200ELNS1_3gpuE4ELNS1_3repE0EEENS1_30default_config_static_selectorELNS0_4arch9wavefront6targetE1EEEvT1_,comdat
.Lfunc_end65:
	.size	_ZN7rocprim17ROCPRIM_400000_NS6detail17trampoline_kernelINS0_14default_configENS1_25partition_config_selectorILNS1_17partition_subalgoE9EllbEEZZNS1_14partition_implILS5_9ELb0ES3_jPKlN6thrust23THRUST_200600_302600_NS17counting_iteratorIlNSB_11use_defaultESD_SD_EEPNS0_10empty_typeENS0_5tupleIJPlSF_EEENSH_IJSI_SG_EEENS0_18inequality_wrapperIN6hipcub16HIPCUB_304000_NS8EqualityEEESI_JSF_EEE10hipError_tPvRmT3_T4_T5_T6_T7_T9_mT8_P12ihipStream_tbDpT10_ENKUlT_T0_E_clISt17integral_constantIbLb1EES18_IbLb0EEEEDaS14_S15_EUlS14_E_NS1_11comp_targetILNS1_3genE10ELNS1_11target_archE1200ELNS1_3gpuE4ELNS1_3repE0EEENS1_30default_config_static_selectorELNS0_4arch9wavefront6targetE1EEEvT1_, .Lfunc_end65-_ZN7rocprim17ROCPRIM_400000_NS6detail17trampoline_kernelINS0_14default_configENS1_25partition_config_selectorILNS1_17partition_subalgoE9EllbEEZZNS1_14partition_implILS5_9ELb0ES3_jPKlN6thrust23THRUST_200600_302600_NS17counting_iteratorIlNSB_11use_defaultESD_SD_EEPNS0_10empty_typeENS0_5tupleIJPlSF_EEENSH_IJSI_SG_EEENS0_18inequality_wrapperIN6hipcub16HIPCUB_304000_NS8EqualityEEESI_JSF_EEE10hipError_tPvRmT3_T4_T5_T6_T7_T9_mT8_P12ihipStream_tbDpT10_ENKUlT_T0_E_clISt17integral_constantIbLb1EES18_IbLb0EEEEDaS14_S15_EUlS14_E_NS1_11comp_targetILNS1_3genE10ELNS1_11target_archE1200ELNS1_3gpuE4ELNS1_3repE0EEENS1_30default_config_static_selectorELNS0_4arch9wavefront6targetE1EEEvT1_
                                        ; -- End function
	.section	.AMDGPU.csdata,"",@progbits
; Kernel info:
; codeLenInByte = 0
; NumSgprs: 6
; NumVgprs: 0
; NumAgprs: 0
; TotalNumVgprs: 0
; ScratchSize: 0
; MemoryBound: 0
; FloatMode: 240
; IeeeMode: 1
; LDSByteSize: 0 bytes/workgroup (compile time only)
; SGPRBlocks: 0
; VGPRBlocks: 0
; NumSGPRsForWavesPerEU: 6
; NumVGPRsForWavesPerEU: 1
; AccumOffset: 4
; Occupancy: 8
; WaveLimiterHint : 0
; COMPUTE_PGM_RSRC2:SCRATCH_EN: 0
; COMPUTE_PGM_RSRC2:USER_SGPR: 2
; COMPUTE_PGM_RSRC2:TRAP_HANDLER: 0
; COMPUTE_PGM_RSRC2:TGID_X_EN: 1
; COMPUTE_PGM_RSRC2:TGID_Y_EN: 0
; COMPUTE_PGM_RSRC2:TGID_Z_EN: 0
; COMPUTE_PGM_RSRC2:TIDIG_COMP_CNT: 0
; COMPUTE_PGM_RSRC3_GFX90A:ACCUM_OFFSET: 0
; COMPUTE_PGM_RSRC3_GFX90A:TG_SPLIT: 0
	.section	.text._ZN7rocprim17ROCPRIM_400000_NS6detail17trampoline_kernelINS0_14default_configENS1_25partition_config_selectorILNS1_17partition_subalgoE9EllbEEZZNS1_14partition_implILS5_9ELb0ES3_jPKlN6thrust23THRUST_200600_302600_NS17counting_iteratorIlNSB_11use_defaultESD_SD_EEPNS0_10empty_typeENS0_5tupleIJPlSF_EEENSH_IJSI_SG_EEENS0_18inequality_wrapperIN6hipcub16HIPCUB_304000_NS8EqualityEEESI_JSF_EEE10hipError_tPvRmT3_T4_T5_T6_T7_T9_mT8_P12ihipStream_tbDpT10_ENKUlT_T0_E_clISt17integral_constantIbLb1EES18_IbLb0EEEEDaS14_S15_EUlS14_E_NS1_11comp_targetILNS1_3genE9ELNS1_11target_archE1100ELNS1_3gpuE3ELNS1_3repE0EEENS1_30default_config_static_selectorELNS0_4arch9wavefront6targetE1EEEvT1_,"axG",@progbits,_ZN7rocprim17ROCPRIM_400000_NS6detail17trampoline_kernelINS0_14default_configENS1_25partition_config_selectorILNS1_17partition_subalgoE9EllbEEZZNS1_14partition_implILS5_9ELb0ES3_jPKlN6thrust23THRUST_200600_302600_NS17counting_iteratorIlNSB_11use_defaultESD_SD_EEPNS0_10empty_typeENS0_5tupleIJPlSF_EEENSH_IJSI_SG_EEENS0_18inequality_wrapperIN6hipcub16HIPCUB_304000_NS8EqualityEEESI_JSF_EEE10hipError_tPvRmT3_T4_T5_T6_T7_T9_mT8_P12ihipStream_tbDpT10_ENKUlT_T0_E_clISt17integral_constantIbLb1EES18_IbLb0EEEEDaS14_S15_EUlS14_E_NS1_11comp_targetILNS1_3genE9ELNS1_11target_archE1100ELNS1_3gpuE3ELNS1_3repE0EEENS1_30default_config_static_selectorELNS0_4arch9wavefront6targetE1EEEvT1_,comdat
	.protected	_ZN7rocprim17ROCPRIM_400000_NS6detail17trampoline_kernelINS0_14default_configENS1_25partition_config_selectorILNS1_17partition_subalgoE9EllbEEZZNS1_14partition_implILS5_9ELb0ES3_jPKlN6thrust23THRUST_200600_302600_NS17counting_iteratorIlNSB_11use_defaultESD_SD_EEPNS0_10empty_typeENS0_5tupleIJPlSF_EEENSH_IJSI_SG_EEENS0_18inequality_wrapperIN6hipcub16HIPCUB_304000_NS8EqualityEEESI_JSF_EEE10hipError_tPvRmT3_T4_T5_T6_T7_T9_mT8_P12ihipStream_tbDpT10_ENKUlT_T0_E_clISt17integral_constantIbLb1EES18_IbLb0EEEEDaS14_S15_EUlS14_E_NS1_11comp_targetILNS1_3genE9ELNS1_11target_archE1100ELNS1_3gpuE3ELNS1_3repE0EEENS1_30default_config_static_selectorELNS0_4arch9wavefront6targetE1EEEvT1_ ; -- Begin function _ZN7rocprim17ROCPRIM_400000_NS6detail17trampoline_kernelINS0_14default_configENS1_25partition_config_selectorILNS1_17partition_subalgoE9EllbEEZZNS1_14partition_implILS5_9ELb0ES3_jPKlN6thrust23THRUST_200600_302600_NS17counting_iteratorIlNSB_11use_defaultESD_SD_EEPNS0_10empty_typeENS0_5tupleIJPlSF_EEENSH_IJSI_SG_EEENS0_18inequality_wrapperIN6hipcub16HIPCUB_304000_NS8EqualityEEESI_JSF_EEE10hipError_tPvRmT3_T4_T5_T6_T7_T9_mT8_P12ihipStream_tbDpT10_ENKUlT_T0_E_clISt17integral_constantIbLb1EES18_IbLb0EEEEDaS14_S15_EUlS14_E_NS1_11comp_targetILNS1_3genE9ELNS1_11target_archE1100ELNS1_3gpuE3ELNS1_3repE0EEENS1_30default_config_static_selectorELNS0_4arch9wavefront6targetE1EEEvT1_
	.globl	_ZN7rocprim17ROCPRIM_400000_NS6detail17trampoline_kernelINS0_14default_configENS1_25partition_config_selectorILNS1_17partition_subalgoE9EllbEEZZNS1_14partition_implILS5_9ELb0ES3_jPKlN6thrust23THRUST_200600_302600_NS17counting_iteratorIlNSB_11use_defaultESD_SD_EEPNS0_10empty_typeENS0_5tupleIJPlSF_EEENSH_IJSI_SG_EEENS0_18inequality_wrapperIN6hipcub16HIPCUB_304000_NS8EqualityEEESI_JSF_EEE10hipError_tPvRmT3_T4_T5_T6_T7_T9_mT8_P12ihipStream_tbDpT10_ENKUlT_T0_E_clISt17integral_constantIbLb1EES18_IbLb0EEEEDaS14_S15_EUlS14_E_NS1_11comp_targetILNS1_3genE9ELNS1_11target_archE1100ELNS1_3gpuE3ELNS1_3repE0EEENS1_30default_config_static_selectorELNS0_4arch9wavefront6targetE1EEEvT1_
	.p2align	8
	.type	_ZN7rocprim17ROCPRIM_400000_NS6detail17trampoline_kernelINS0_14default_configENS1_25partition_config_selectorILNS1_17partition_subalgoE9EllbEEZZNS1_14partition_implILS5_9ELb0ES3_jPKlN6thrust23THRUST_200600_302600_NS17counting_iteratorIlNSB_11use_defaultESD_SD_EEPNS0_10empty_typeENS0_5tupleIJPlSF_EEENSH_IJSI_SG_EEENS0_18inequality_wrapperIN6hipcub16HIPCUB_304000_NS8EqualityEEESI_JSF_EEE10hipError_tPvRmT3_T4_T5_T6_T7_T9_mT8_P12ihipStream_tbDpT10_ENKUlT_T0_E_clISt17integral_constantIbLb1EES18_IbLb0EEEEDaS14_S15_EUlS14_E_NS1_11comp_targetILNS1_3genE9ELNS1_11target_archE1100ELNS1_3gpuE3ELNS1_3repE0EEENS1_30default_config_static_selectorELNS0_4arch9wavefront6targetE1EEEvT1_,@function
_ZN7rocprim17ROCPRIM_400000_NS6detail17trampoline_kernelINS0_14default_configENS1_25partition_config_selectorILNS1_17partition_subalgoE9EllbEEZZNS1_14partition_implILS5_9ELb0ES3_jPKlN6thrust23THRUST_200600_302600_NS17counting_iteratorIlNSB_11use_defaultESD_SD_EEPNS0_10empty_typeENS0_5tupleIJPlSF_EEENSH_IJSI_SG_EEENS0_18inequality_wrapperIN6hipcub16HIPCUB_304000_NS8EqualityEEESI_JSF_EEE10hipError_tPvRmT3_T4_T5_T6_T7_T9_mT8_P12ihipStream_tbDpT10_ENKUlT_T0_E_clISt17integral_constantIbLb1EES18_IbLb0EEEEDaS14_S15_EUlS14_E_NS1_11comp_targetILNS1_3genE9ELNS1_11target_archE1100ELNS1_3gpuE3ELNS1_3repE0EEENS1_30default_config_static_selectorELNS0_4arch9wavefront6targetE1EEEvT1_: ; @_ZN7rocprim17ROCPRIM_400000_NS6detail17trampoline_kernelINS0_14default_configENS1_25partition_config_selectorILNS1_17partition_subalgoE9EllbEEZZNS1_14partition_implILS5_9ELb0ES3_jPKlN6thrust23THRUST_200600_302600_NS17counting_iteratorIlNSB_11use_defaultESD_SD_EEPNS0_10empty_typeENS0_5tupleIJPlSF_EEENSH_IJSI_SG_EEENS0_18inequality_wrapperIN6hipcub16HIPCUB_304000_NS8EqualityEEESI_JSF_EEE10hipError_tPvRmT3_T4_T5_T6_T7_T9_mT8_P12ihipStream_tbDpT10_ENKUlT_T0_E_clISt17integral_constantIbLb1EES18_IbLb0EEEEDaS14_S15_EUlS14_E_NS1_11comp_targetILNS1_3genE9ELNS1_11target_archE1100ELNS1_3gpuE3ELNS1_3repE0EEENS1_30default_config_static_selectorELNS0_4arch9wavefront6targetE1EEEvT1_
; %bb.0:
	.section	.rodata,"a",@progbits
	.p2align	6, 0x0
	.amdhsa_kernel _ZN7rocprim17ROCPRIM_400000_NS6detail17trampoline_kernelINS0_14default_configENS1_25partition_config_selectorILNS1_17partition_subalgoE9EllbEEZZNS1_14partition_implILS5_9ELb0ES3_jPKlN6thrust23THRUST_200600_302600_NS17counting_iteratorIlNSB_11use_defaultESD_SD_EEPNS0_10empty_typeENS0_5tupleIJPlSF_EEENSH_IJSI_SG_EEENS0_18inequality_wrapperIN6hipcub16HIPCUB_304000_NS8EqualityEEESI_JSF_EEE10hipError_tPvRmT3_T4_T5_T6_T7_T9_mT8_P12ihipStream_tbDpT10_ENKUlT_T0_E_clISt17integral_constantIbLb1EES18_IbLb0EEEEDaS14_S15_EUlS14_E_NS1_11comp_targetILNS1_3genE9ELNS1_11target_archE1100ELNS1_3gpuE3ELNS1_3repE0EEENS1_30default_config_static_selectorELNS0_4arch9wavefront6targetE1EEEvT1_
		.amdhsa_group_segment_fixed_size 0
		.amdhsa_private_segment_fixed_size 0
		.amdhsa_kernarg_size 112
		.amdhsa_user_sgpr_count 2
		.amdhsa_user_sgpr_dispatch_ptr 0
		.amdhsa_user_sgpr_queue_ptr 0
		.amdhsa_user_sgpr_kernarg_segment_ptr 1
		.amdhsa_user_sgpr_dispatch_id 0
		.amdhsa_user_sgpr_kernarg_preload_length 0
		.amdhsa_user_sgpr_kernarg_preload_offset 0
		.amdhsa_user_sgpr_private_segment_size 0
		.amdhsa_uses_dynamic_stack 0
		.amdhsa_enable_private_segment 0
		.amdhsa_system_sgpr_workgroup_id_x 1
		.amdhsa_system_sgpr_workgroup_id_y 0
		.amdhsa_system_sgpr_workgroup_id_z 0
		.amdhsa_system_sgpr_workgroup_info 0
		.amdhsa_system_vgpr_workitem_id 0
		.amdhsa_next_free_vgpr 1
		.amdhsa_next_free_sgpr 0
		.amdhsa_accum_offset 4
		.amdhsa_reserve_vcc 0
		.amdhsa_float_round_mode_32 0
		.amdhsa_float_round_mode_16_64 0
		.amdhsa_float_denorm_mode_32 3
		.amdhsa_float_denorm_mode_16_64 3
		.amdhsa_dx10_clamp 1
		.amdhsa_ieee_mode 1
		.amdhsa_fp16_overflow 0
		.amdhsa_tg_split 0
		.amdhsa_exception_fp_ieee_invalid_op 0
		.amdhsa_exception_fp_denorm_src 0
		.amdhsa_exception_fp_ieee_div_zero 0
		.amdhsa_exception_fp_ieee_overflow 0
		.amdhsa_exception_fp_ieee_underflow 0
		.amdhsa_exception_fp_ieee_inexact 0
		.amdhsa_exception_int_div_zero 0
	.end_amdhsa_kernel
	.section	.text._ZN7rocprim17ROCPRIM_400000_NS6detail17trampoline_kernelINS0_14default_configENS1_25partition_config_selectorILNS1_17partition_subalgoE9EllbEEZZNS1_14partition_implILS5_9ELb0ES3_jPKlN6thrust23THRUST_200600_302600_NS17counting_iteratorIlNSB_11use_defaultESD_SD_EEPNS0_10empty_typeENS0_5tupleIJPlSF_EEENSH_IJSI_SG_EEENS0_18inequality_wrapperIN6hipcub16HIPCUB_304000_NS8EqualityEEESI_JSF_EEE10hipError_tPvRmT3_T4_T5_T6_T7_T9_mT8_P12ihipStream_tbDpT10_ENKUlT_T0_E_clISt17integral_constantIbLb1EES18_IbLb0EEEEDaS14_S15_EUlS14_E_NS1_11comp_targetILNS1_3genE9ELNS1_11target_archE1100ELNS1_3gpuE3ELNS1_3repE0EEENS1_30default_config_static_selectorELNS0_4arch9wavefront6targetE1EEEvT1_,"axG",@progbits,_ZN7rocprim17ROCPRIM_400000_NS6detail17trampoline_kernelINS0_14default_configENS1_25partition_config_selectorILNS1_17partition_subalgoE9EllbEEZZNS1_14partition_implILS5_9ELb0ES3_jPKlN6thrust23THRUST_200600_302600_NS17counting_iteratorIlNSB_11use_defaultESD_SD_EEPNS0_10empty_typeENS0_5tupleIJPlSF_EEENSH_IJSI_SG_EEENS0_18inequality_wrapperIN6hipcub16HIPCUB_304000_NS8EqualityEEESI_JSF_EEE10hipError_tPvRmT3_T4_T5_T6_T7_T9_mT8_P12ihipStream_tbDpT10_ENKUlT_T0_E_clISt17integral_constantIbLb1EES18_IbLb0EEEEDaS14_S15_EUlS14_E_NS1_11comp_targetILNS1_3genE9ELNS1_11target_archE1100ELNS1_3gpuE3ELNS1_3repE0EEENS1_30default_config_static_selectorELNS0_4arch9wavefront6targetE1EEEvT1_,comdat
.Lfunc_end66:
	.size	_ZN7rocprim17ROCPRIM_400000_NS6detail17trampoline_kernelINS0_14default_configENS1_25partition_config_selectorILNS1_17partition_subalgoE9EllbEEZZNS1_14partition_implILS5_9ELb0ES3_jPKlN6thrust23THRUST_200600_302600_NS17counting_iteratorIlNSB_11use_defaultESD_SD_EEPNS0_10empty_typeENS0_5tupleIJPlSF_EEENSH_IJSI_SG_EEENS0_18inequality_wrapperIN6hipcub16HIPCUB_304000_NS8EqualityEEESI_JSF_EEE10hipError_tPvRmT3_T4_T5_T6_T7_T9_mT8_P12ihipStream_tbDpT10_ENKUlT_T0_E_clISt17integral_constantIbLb1EES18_IbLb0EEEEDaS14_S15_EUlS14_E_NS1_11comp_targetILNS1_3genE9ELNS1_11target_archE1100ELNS1_3gpuE3ELNS1_3repE0EEENS1_30default_config_static_selectorELNS0_4arch9wavefront6targetE1EEEvT1_, .Lfunc_end66-_ZN7rocprim17ROCPRIM_400000_NS6detail17trampoline_kernelINS0_14default_configENS1_25partition_config_selectorILNS1_17partition_subalgoE9EllbEEZZNS1_14partition_implILS5_9ELb0ES3_jPKlN6thrust23THRUST_200600_302600_NS17counting_iteratorIlNSB_11use_defaultESD_SD_EEPNS0_10empty_typeENS0_5tupleIJPlSF_EEENSH_IJSI_SG_EEENS0_18inequality_wrapperIN6hipcub16HIPCUB_304000_NS8EqualityEEESI_JSF_EEE10hipError_tPvRmT3_T4_T5_T6_T7_T9_mT8_P12ihipStream_tbDpT10_ENKUlT_T0_E_clISt17integral_constantIbLb1EES18_IbLb0EEEEDaS14_S15_EUlS14_E_NS1_11comp_targetILNS1_3genE9ELNS1_11target_archE1100ELNS1_3gpuE3ELNS1_3repE0EEENS1_30default_config_static_selectorELNS0_4arch9wavefront6targetE1EEEvT1_
                                        ; -- End function
	.section	.AMDGPU.csdata,"",@progbits
; Kernel info:
; codeLenInByte = 0
; NumSgprs: 6
; NumVgprs: 0
; NumAgprs: 0
; TotalNumVgprs: 0
; ScratchSize: 0
; MemoryBound: 0
; FloatMode: 240
; IeeeMode: 1
; LDSByteSize: 0 bytes/workgroup (compile time only)
; SGPRBlocks: 0
; VGPRBlocks: 0
; NumSGPRsForWavesPerEU: 6
; NumVGPRsForWavesPerEU: 1
; AccumOffset: 4
; Occupancy: 8
; WaveLimiterHint : 0
; COMPUTE_PGM_RSRC2:SCRATCH_EN: 0
; COMPUTE_PGM_RSRC2:USER_SGPR: 2
; COMPUTE_PGM_RSRC2:TRAP_HANDLER: 0
; COMPUTE_PGM_RSRC2:TGID_X_EN: 1
; COMPUTE_PGM_RSRC2:TGID_Y_EN: 0
; COMPUTE_PGM_RSRC2:TGID_Z_EN: 0
; COMPUTE_PGM_RSRC2:TIDIG_COMP_CNT: 0
; COMPUTE_PGM_RSRC3_GFX90A:ACCUM_OFFSET: 0
; COMPUTE_PGM_RSRC3_GFX90A:TG_SPLIT: 0
	.section	.text._ZN7rocprim17ROCPRIM_400000_NS6detail17trampoline_kernelINS0_14default_configENS1_25partition_config_selectorILNS1_17partition_subalgoE9EllbEEZZNS1_14partition_implILS5_9ELb0ES3_jPKlN6thrust23THRUST_200600_302600_NS17counting_iteratorIlNSB_11use_defaultESD_SD_EEPNS0_10empty_typeENS0_5tupleIJPlSF_EEENSH_IJSI_SG_EEENS0_18inequality_wrapperIN6hipcub16HIPCUB_304000_NS8EqualityEEESI_JSF_EEE10hipError_tPvRmT3_T4_T5_T6_T7_T9_mT8_P12ihipStream_tbDpT10_ENKUlT_T0_E_clISt17integral_constantIbLb1EES18_IbLb0EEEEDaS14_S15_EUlS14_E_NS1_11comp_targetILNS1_3genE8ELNS1_11target_archE1030ELNS1_3gpuE2ELNS1_3repE0EEENS1_30default_config_static_selectorELNS0_4arch9wavefront6targetE1EEEvT1_,"axG",@progbits,_ZN7rocprim17ROCPRIM_400000_NS6detail17trampoline_kernelINS0_14default_configENS1_25partition_config_selectorILNS1_17partition_subalgoE9EllbEEZZNS1_14partition_implILS5_9ELb0ES3_jPKlN6thrust23THRUST_200600_302600_NS17counting_iteratorIlNSB_11use_defaultESD_SD_EEPNS0_10empty_typeENS0_5tupleIJPlSF_EEENSH_IJSI_SG_EEENS0_18inequality_wrapperIN6hipcub16HIPCUB_304000_NS8EqualityEEESI_JSF_EEE10hipError_tPvRmT3_T4_T5_T6_T7_T9_mT8_P12ihipStream_tbDpT10_ENKUlT_T0_E_clISt17integral_constantIbLb1EES18_IbLb0EEEEDaS14_S15_EUlS14_E_NS1_11comp_targetILNS1_3genE8ELNS1_11target_archE1030ELNS1_3gpuE2ELNS1_3repE0EEENS1_30default_config_static_selectorELNS0_4arch9wavefront6targetE1EEEvT1_,comdat
	.protected	_ZN7rocprim17ROCPRIM_400000_NS6detail17trampoline_kernelINS0_14default_configENS1_25partition_config_selectorILNS1_17partition_subalgoE9EllbEEZZNS1_14partition_implILS5_9ELb0ES3_jPKlN6thrust23THRUST_200600_302600_NS17counting_iteratorIlNSB_11use_defaultESD_SD_EEPNS0_10empty_typeENS0_5tupleIJPlSF_EEENSH_IJSI_SG_EEENS0_18inequality_wrapperIN6hipcub16HIPCUB_304000_NS8EqualityEEESI_JSF_EEE10hipError_tPvRmT3_T4_T5_T6_T7_T9_mT8_P12ihipStream_tbDpT10_ENKUlT_T0_E_clISt17integral_constantIbLb1EES18_IbLb0EEEEDaS14_S15_EUlS14_E_NS1_11comp_targetILNS1_3genE8ELNS1_11target_archE1030ELNS1_3gpuE2ELNS1_3repE0EEENS1_30default_config_static_selectorELNS0_4arch9wavefront6targetE1EEEvT1_ ; -- Begin function _ZN7rocprim17ROCPRIM_400000_NS6detail17trampoline_kernelINS0_14default_configENS1_25partition_config_selectorILNS1_17partition_subalgoE9EllbEEZZNS1_14partition_implILS5_9ELb0ES3_jPKlN6thrust23THRUST_200600_302600_NS17counting_iteratorIlNSB_11use_defaultESD_SD_EEPNS0_10empty_typeENS0_5tupleIJPlSF_EEENSH_IJSI_SG_EEENS0_18inequality_wrapperIN6hipcub16HIPCUB_304000_NS8EqualityEEESI_JSF_EEE10hipError_tPvRmT3_T4_T5_T6_T7_T9_mT8_P12ihipStream_tbDpT10_ENKUlT_T0_E_clISt17integral_constantIbLb1EES18_IbLb0EEEEDaS14_S15_EUlS14_E_NS1_11comp_targetILNS1_3genE8ELNS1_11target_archE1030ELNS1_3gpuE2ELNS1_3repE0EEENS1_30default_config_static_selectorELNS0_4arch9wavefront6targetE1EEEvT1_
	.globl	_ZN7rocprim17ROCPRIM_400000_NS6detail17trampoline_kernelINS0_14default_configENS1_25partition_config_selectorILNS1_17partition_subalgoE9EllbEEZZNS1_14partition_implILS5_9ELb0ES3_jPKlN6thrust23THRUST_200600_302600_NS17counting_iteratorIlNSB_11use_defaultESD_SD_EEPNS0_10empty_typeENS0_5tupleIJPlSF_EEENSH_IJSI_SG_EEENS0_18inequality_wrapperIN6hipcub16HIPCUB_304000_NS8EqualityEEESI_JSF_EEE10hipError_tPvRmT3_T4_T5_T6_T7_T9_mT8_P12ihipStream_tbDpT10_ENKUlT_T0_E_clISt17integral_constantIbLb1EES18_IbLb0EEEEDaS14_S15_EUlS14_E_NS1_11comp_targetILNS1_3genE8ELNS1_11target_archE1030ELNS1_3gpuE2ELNS1_3repE0EEENS1_30default_config_static_selectorELNS0_4arch9wavefront6targetE1EEEvT1_
	.p2align	8
	.type	_ZN7rocprim17ROCPRIM_400000_NS6detail17trampoline_kernelINS0_14default_configENS1_25partition_config_selectorILNS1_17partition_subalgoE9EllbEEZZNS1_14partition_implILS5_9ELb0ES3_jPKlN6thrust23THRUST_200600_302600_NS17counting_iteratorIlNSB_11use_defaultESD_SD_EEPNS0_10empty_typeENS0_5tupleIJPlSF_EEENSH_IJSI_SG_EEENS0_18inequality_wrapperIN6hipcub16HIPCUB_304000_NS8EqualityEEESI_JSF_EEE10hipError_tPvRmT3_T4_T5_T6_T7_T9_mT8_P12ihipStream_tbDpT10_ENKUlT_T0_E_clISt17integral_constantIbLb1EES18_IbLb0EEEEDaS14_S15_EUlS14_E_NS1_11comp_targetILNS1_3genE8ELNS1_11target_archE1030ELNS1_3gpuE2ELNS1_3repE0EEENS1_30default_config_static_selectorELNS0_4arch9wavefront6targetE1EEEvT1_,@function
_ZN7rocprim17ROCPRIM_400000_NS6detail17trampoline_kernelINS0_14default_configENS1_25partition_config_selectorILNS1_17partition_subalgoE9EllbEEZZNS1_14partition_implILS5_9ELb0ES3_jPKlN6thrust23THRUST_200600_302600_NS17counting_iteratorIlNSB_11use_defaultESD_SD_EEPNS0_10empty_typeENS0_5tupleIJPlSF_EEENSH_IJSI_SG_EEENS0_18inequality_wrapperIN6hipcub16HIPCUB_304000_NS8EqualityEEESI_JSF_EEE10hipError_tPvRmT3_T4_T5_T6_T7_T9_mT8_P12ihipStream_tbDpT10_ENKUlT_T0_E_clISt17integral_constantIbLb1EES18_IbLb0EEEEDaS14_S15_EUlS14_E_NS1_11comp_targetILNS1_3genE8ELNS1_11target_archE1030ELNS1_3gpuE2ELNS1_3repE0EEENS1_30default_config_static_selectorELNS0_4arch9wavefront6targetE1EEEvT1_: ; @_ZN7rocprim17ROCPRIM_400000_NS6detail17trampoline_kernelINS0_14default_configENS1_25partition_config_selectorILNS1_17partition_subalgoE9EllbEEZZNS1_14partition_implILS5_9ELb0ES3_jPKlN6thrust23THRUST_200600_302600_NS17counting_iteratorIlNSB_11use_defaultESD_SD_EEPNS0_10empty_typeENS0_5tupleIJPlSF_EEENSH_IJSI_SG_EEENS0_18inequality_wrapperIN6hipcub16HIPCUB_304000_NS8EqualityEEESI_JSF_EEE10hipError_tPvRmT3_T4_T5_T6_T7_T9_mT8_P12ihipStream_tbDpT10_ENKUlT_T0_E_clISt17integral_constantIbLb1EES18_IbLb0EEEEDaS14_S15_EUlS14_E_NS1_11comp_targetILNS1_3genE8ELNS1_11target_archE1030ELNS1_3gpuE2ELNS1_3repE0EEENS1_30default_config_static_selectorELNS0_4arch9wavefront6targetE1EEEvT1_
; %bb.0:
	.section	.rodata,"a",@progbits
	.p2align	6, 0x0
	.amdhsa_kernel _ZN7rocprim17ROCPRIM_400000_NS6detail17trampoline_kernelINS0_14default_configENS1_25partition_config_selectorILNS1_17partition_subalgoE9EllbEEZZNS1_14partition_implILS5_9ELb0ES3_jPKlN6thrust23THRUST_200600_302600_NS17counting_iteratorIlNSB_11use_defaultESD_SD_EEPNS0_10empty_typeENS0_5tupleIJPlSF_EEENSH_IJSI_SG_EEENS0_18inequality_wrapperIN6hipcub16HIPCUB_304000_NS8EqualityEEESI_JSF_EEE10hipError_tPvRmT3_T4_T5_T6_T7_T9_mT8_P12ihipStream_tbDpT10_ENKUlT_T0_E_clISt17integral_constantIbLb1EES18_IbLb0EEEEDaS14_S15_EUlS14_E_NS1_11comp_targetILNS1_3genE8ELNS1_11target_archE1030ELNS1_3gpuE2ELNS1_3repE0EEENS1_30default_config_static_selectorELNS0_4arch9wavefront6targetE1EEEvT1_
		.amdhsa_group_segment_fixed_size 0
		.amdhsa_private_segment_fixed_size 0
		.amdhsa_kernarg_size 112
		.amdhsa_user_sgpr_count 2
		.amdhsa_user_sgpr_dispatch_ptr 0
		.amdhsa_user_sgpr_queue_ptr 0
		.amdhsa_user_sgpr_kernarg_segment_ptr 1
		.amdhsa_user_sgpr_dispatch_id 0
		.amdhsa_user_sgpr_kernarg_preload_length 0
		.amdhsa_user_sgpr_kernarg_preload_offset 0
		.amdhsa_user_sgpr_private_segment_size 0
		.amdhsa_uses_dynamic_stack 0
		.amdhsa_enable_private_segment 0
		.amdhsa_system_sgpr_workgroup_id_x 1
		.amdhsa_system_sgpr_workgroup_id_y 0
		.amdhsa_system_sgpr_workgroup_id_z 0
		.amdhsa_system_sgpr_workgroup_info 0
		.amdhsa_system_vgpr_workitem_id 0
		.amdhsa_next_free_vgpr 1
		.amdhsa_next_free_sgpr 0
		.amdhsa_accum_offset 4
		.amdhsa_reserve_vcc 0
		.amdhsa_float_round_mode_32 0
		.amdhsa_float_round_mode_16_64 0
		.amdhsa_float_denorm_mode_32 3
		.amdhsa_float_denorm_mode_16_64 3
		.amdhsa_dx10_clamp 1
		.amdhsa_ieee_mode 1
		.amdhsa_fp16_overflow 0
		.amdhsa_tg_split 0
		.amdhsa_exception_fp_ieee_invalid_op 0
		.amdhsa_exception_fp_denorm_src 0
		.amdhsa_exception_fp_ieee_div_zero 0
		.amdhsa_exception_fp_ieee_overflow 0
		.amdhsa_exception_fp_ieee_underflow 0
		.amdhsa_exception_fp_ieee_inexact 0
		.amdhsa_exception_int_div_zero 0
	.end_amdhsa_kernel
	.section	.text._ZN7rocprim17ROCPRIM_400000_NS6detail17trampoline_kernelINS0_14default_configENS1_25partition_config_selectorILNS1_17partition_subalgoE9EllbEEZZNS1_14partition_implILS5_9ELb0ES3_jPKlN6thrust23THRUST_200600_302600_NS17counting_iteratorIlNSB_11use_defaultESD_SD_EEPNS0_10empty_typeENS0_5tupleIJPlSF_EEENSH_IJSI_SG_EEENS0_18inequality_wrapperIN6hipcub16HIPCUB_304000_NS8EqualityEEESI_JSF_EEE10hipError_tPvRmT3_T4_T5_T6_T7_T9_mT8_P12ihipStream_tbDpT10_ENKUlT_T0_E_clISt17integral_constantIbLb1EES18_IbLb0EEEEDaS14_S15_EUlS14_E_NS1_11comp_targetILNS1_3genE8ELNS1_11target_archE1030ELNS1_3gpuE2ELNS1_3repE0EEENS1_30default_config_static_selectorELNS0_4arch9wavefront6targetE1EEEvT1_,"axG",@progbits,_ZN7rocprim17ROCPRIM_400000_NS6detail17trampoline_kernelINS0_14default_configENS1_25partition_config_selectorILNS1_17partition_subalgoE9EllbEEZZNS1_14partition_implILS5_9ELb0ES3_jPKlN6thrust23THRUST_200600_302600_NS17counting_iteratorIlNSB_11use_defaultESD_SD_EEPNS0_10empty_typeENS0_5tupleIJPlSF_EEENSH_IJSI_SG_EEENS0_18inequality_wrapperIN6hipcub16HIPCUB_304000_NS8EqualityEEESI_JSF_EEE10hipError_tPvRmT3_T4_T5_T6_T7_T9_mT8_P12ihipStream_tbDpT10_ENKUlT_T0_E_clISt17integral_constantIbLb1EES18_IbLb0EEEEDaS14_S15_EUlS14_E_NS1_11comp_targetILNS1_3genE8ELNS1_11target_archE1030ELNS1_3gpuE2ELNS1_3repE0EEENS1_30default_config_static_selectorELNS0_4arch9wavefront6targetE1EEEvT1_,comdat
.Lfunc_end67:
	.size	_ZN7rocprim17ROCPRIM_400000_NS6detail17trampoline_kernelINS0_14default_configENS1_25partition_config_selectorILNS1_17partition_subalgoE9EllbEEZZNS1_14partition_implILS5_9ELb0ES3_jPKlN6thrust23THRUST_200600_302600_NS17counting_iteratorIlNSB_11use_defaultESD_SD_EEPNS0_10empty_typeENS0_5tupleIJPlSF_EEENSH_IJSI_SG_EEENS0_18inequality_wrapperIN6hipcub16HIPCUB_304000_NS8EqualityEEESI_JSF_EEE10hipError_tPvRmT3_T4_T5_T6_T7_T9_mT8_P12ihipStream_tbDpT10_ENKUlT_T0_E_clISt17integral_constantIbLb1EES18_IbLb0EEEEDaS14_S15_EUlS14_E_NS1_11comp_targetILNS1_3genE8ELNS1_11target_archE1030ELNS1_3gpuE2ELNS1_3repE0EEENS1_30default_config_static_selectorELNS0_4arch9wavefront6targetE1EEEvT1_, .Lfunc_end67-_ZN7rocprim17ROCPRIM_400000_NS6detail17trampoline_kernelINS0_14default_configENS1_25partition_config_selectorILNS1_17partition_subalgoE9EllbEEZZNS1_14partition_implILS5_9ELb0ES3_jPKlN6thrust23THRUST_200600_302600_NS17counting_iteratorIlNSB_11use_defaultESD_SD_EEPNS0_10empty_typeENS0_5tupleIJPlSF_EEENSH_IJSI_SG_EEENS0_18inequality_wrapperIN6hipcub16HIPCUB_304000_NS8EqualityEEESI_JSF_EEE10hipError_tPvRmT3_T4_T5_T6_T7_T9_mT8_P12ihipStream_tbDpT10_ENKUlT_T0_E_clISt17integral_constantIbLb1EES18_IbLb0EEEEDaS14_S15_EUlS14_E_NS1_11comp_targetILNS1_3genE8ELNS1_11target_archE1030ELNS1_3gpuE2ELNS1_3repE0EEENS1_30default_config_static_selectorELNS0_4arch9wavefront6targetE1EEEvT1_
                                        ; -- End function
	.section	.AMDGPU.csdata,"",@progbits
; Kernel info:
; codeLenInByte = 0
; NumSgprs: 6
; NumVgprs: 0
; NumAgprs: 0
; TotalNumVgprs: 0
; ScratchSize: 0
; MemoryBound: 0
; FloatMode: 240
; IeeeMode: 1
; LDSByteSize: 0 bytes/workgroup (compile time only)
; SGPRBlocks: 0
; VGPRBlocks: 0
; NumSGPRsForWavesPerEU: 6
; NumVGPRsForWavesPerEU: 1
; AccumOffset: 4
; Occupancy: 8
; WaveLimiterHint : 0
; COMPUTE_PGM_RSRC2:SCRATCH_EN: 0
; COMPUTE_PGM_RSRC2:USER_SGPR: 2
; COMPUTE_PGM_RSRC2:TRAP_HANDLER: 0
; COMPUTE_PGM_RSRC2:TGID_X_EN: 1
; COMPUTE_PGM_RSRC2:TGID_Y_EN: 0
; COMPUTE_PGM_RSRC2:TGID_Z_EN: 0
; COMPUTE_PGM_RSRC2:TIDIG_COMP_CNT: 0
; COMPUTE_PGM_RSRC3_GFX90A:ACCUM_OFFSET: 0
; COMPUTE_PGM_RSRC3_GFX90A:TG_SPLIT: 0
	.section	.text._ZN7rocprim17ROCPRIM_400000_NS6detail17trampoline_kernelINS0_14default_configENS1_25partition_config_selectorILNS1_17partition_subalgoE9EllbEEZZNS1_14partition_implILS5_9ELb0ES3_jPKlN6thrust23THRUST_200600_302600_NS17counting_iteratorIlNSB_11use_defaultESD_SD_EEPNS0_10empty_typeENS0_5tupleIJPlSF_EEENSH_IJSI_SG_EEENS0_18inequality_wrapperIN6hipcub16HIPCUB_304000_NS8EqualityEEESI_JSF_EEE10hipError_tPvRmT3_T4_T5_T6_T7_T9_mT8_P12ihipStream_tbDpT10_ENKUlT_T0_E_clISt17integral_constantIbLb0EES18_IbLb1EEEEDaS14_S15_EUlS14_E_NS1_11comp_targetILNS1_3genE0ELNS1_11target_archE4294967295ELNS1_3gpuE0ELNS1_3repE0EEENS1_30default_config_static_selectorELNS0_4arch9wavefront6targetE1EEEvT1_,"axG",@progbits,_ZN7rocprim17ROCPRIM_400000_NS6detail17trampoline_kernelINS0_14default_configENS1_25partition_config_selectorILNS1_17partition_subalgoE9EllbEEZZNS1_14partition_implILS5_9ELb0ES3_jPKlN6thrust23THRUST_200600_302600_NS17counting_iteratorIlNSB_11use_defaultESD_SD_EEPNS0_10empty_typeENS0_5tupleIJPlSF_EEENSH_IJSI_SG_EEENS0_18inequality_wrapperIN6hipcub16HIPCUB_304000_NS8EqualityEEESI_JSF_EEE10hipError_tPvRmT3_T4_T5_T6_T7_T9_mT8_P12ihipStream_tbDpT10_ENKUlT_T0_E_clISt17integral_constantIbLb0EES18_IbLb1EEEEDaS14_S15_EUlS14_E_NS1_11comp_targetILNS1_3genE0ELNS1_11target_archE4294967295ELNS1_3gpuE0ELNS1_3repE0EEENS1_30default_config_static_selectorELNS0_4arch9wavefront6targetE1EEEvT1_,comdat
	.protected	_ZN7rocprim17ROCPRIM_400000_NS6detail17trampoline_kernelINS0_14default_configENS1_25partition_config_selectorILNS1_17partition_subalgoE9EllbEEZZNS1_14partition_implILS5_9ELb0ES3_jPKlN6thrust23THRUST_200600_302600_NS17counting_iteratorIlNSB_11use_defaultESD_SD_EEPNS0_10empty_typeENS0_5tupleIJPlSF_EEENSH_IJSI_SG_EEENS0_18inequality_wrapperIN6hipcub16HIPCUB_304000_NS8EqualityEEESI_JSF_EEE10hipError_tPvRmT3_T4_T5_T6_T7_T9_mT8_P12ihipStream_tbDpT10_ENKUlT_T0_E_clISt17integral_constantIbLb0EES18_IbLb1EEEEDaS14_S15_EUlS14_E_NS1_11comp_targetILNS1_3genE0ELNS1_11target_archE4294967295ELNS1_3gpuE0ELNS1_3repE0EEENS1_30default_config_static_selectorELNS0_4arch9wavefront6targetE1EEEvT1_ ; -- Begin function _ZN7rocprim17ROCPRIM_400000_NS6detail17trampoline_kernelINS0_14default_configENS1_25partition_config_selectorILNS1_17partition_subalgoE9EllbEEZZNS1_14partition_implILS5_9ELb0ES3_jPKlN6thrust23THRUST_200600_302600_NS17counting_iteratorIlNSB_11use_defaultESD_SD_EEPNS0_10empty_typeENS0_5tupleIJPlSF_EEENSH_IJSI_SG_EEENS0_18inequality_wrapperIN6hipcub16HIPCUB_304000_NS8EqualityEEESI_JSF_EEE10hipError_tPvRmT3_T4_T5_T6_T7_T9_mT8_P12ihipStream_tbDpT10_ENKUlT_T0_E_clISt17integral_constantIbLb0EES18_IbLb1EEEEDaS14_S15_EUlS14_E_NS1_11comp_targetILNS1_3genE0ELNS1_11target_archE4294967295ELNS1_3gpuE0ELNS1_3repE0EEENS1_30default_config_static_selectorELNS0_4arch9wavefront6targetE1EEEvT1_
	.globl	_ZN7rocprim17ROCPRIM_400000_NS6detail17trampoline_kernelINS0_14default_configENS1_25partition_config_selectorILNS1_17partition_subalgoE9EllbEEZZNS1_14partition_implILS5_9ELb0ES3_jPKlN6thrust23THRUST_200600_302600_NS17counting_iteratorIlNSB_11use_defaultESD_SD_EEPNS0_10empty_typeENS0_5tupleIJPlSF_EEENSH_IJSI_SG_EEENS0_18inequality_wrapperIN6hipcub16HIPCUB_304000_NS8EqualityEEESI_JSF_EEE10hipError_tPvRmT3_T4_T5_T6_T7_T9_mT8_P12ihipStream_tbDpT10_ENKUlT_T0_E_clISt17integral_constantIbLb0EES18_IbLb1EEEEDaS14_S15_EUlS14_E_NS1_11comp_targetILNS1_3genE0ELNS1_11target_archE4294967295ELNS1_3gpuE0ELNS1_3repE0EEENS1_30default_config_static_selectorELNS0_4arch9wavefront6targetE1EEEvT1_
	.p2align	8
	.type	_ZN7rocprim17ROCPRIM_400000_NS6detail17trampoline_kernelINS0_14default_configENS1_25partition_config_selectorILNS1_17partition_subalgoE9EllbEEZZNS1_14partition_implILS5_9ELb0ES3_jPKlN6thrust23THRUST_200600_302600_NS17counting_iteratorIlNSB_11use_defaultESD_SD_EEPNS0_10empty_typeENS0_5tupleIJPlSF_EEENSH_IJSI_SG_EEENS0_18inequality_wrapperIN6hipcub16HIPCUB_304000_NS8EqualityEEESI_JSF_EEE10hipError_tPvRmT3_T4_T5_T6_T7_T9_mT8_P12ihipStream_tbDpT10_ENKUlT_T0_E_clISt17integral_constantIbLb0EES18_IbLb1EEEEDaS14_S15_EUlS14_E_NS1_11comp_targetILNS1_3genE0ELNS1_11target_archE4294967295ELNS1_3gpuE0ELNS1_3repE0EEENS1_30default_config_static_selectorELNS0_4arch9wavefront6targetE1EEEvT1_,@function
_ZN7rocprim17ROCPRIM_400000_NS6detail17trampoline_kernelINS0_14default_configENS1_25partition_config_selectorILNS1_17partition_subalgoE9EllbEEZZNS1_14partition_implILS5_9ELb0ES3_jPKlN6thrust23THRUST_200600_302600_NS17counting_iteratorIlNSB_11use_defaultESD_SD_EEPNS0_10empty_typeENS0_5tupleIJPlSF_EEENSH_IJSI_SG_EEENS0_18inequality_wrapperIN6hipcub16HIPCUB_304000_NS8EqualityEEESI_JSF_EEE10hipError_tPvRmT3_T4_T5_T6_T7_T9_mT8_P12ihipStream_tbDpT10_ENKUlT_T0_E_clISt17integral_constantIbLb0EES18_IbLb1EEEEDaS14_S15_EUlS14_E_NS1_11comp_targetILNS1_3genE0ELNS1_11target_archE4294967295ELNS1_3gpuE0ELNS1_3repE0EEENS1_30default_config_static_selectorELNS0_4arch9wavefront6targetE1EEEvT1_: ; @_ZN7rocprim17ROCPRIM_400000_NS6detail17trampoline_kernelINS0_14default_configENS1_25partition_config_selectorILNS1_17partition_subalgoE9EllbEEZZNS1_14partition_implILS5_9ELb0ES3_jPKlN6thrust23THRUST_200600_302600_NS17counting_iteratorIlNSB_11use_defaultESD_SD_EEPNS0_10empty_typeENS0_5tupleIJPlSF_EEENSH_IJSI_SG_EEENS0_18inequality_wrapperIN6hipcub16HIPCUB_304000_NS8EqualityEEESI_JSF_EEE10hipError_tPvRmT3_T4_T5_T6_T7_T9_mT8_P12ihipStream_tbDpT10_ENKUlT_T0_E_clISt17integral_constantIbLb0EES18_IbLb1EEEEDaS14_S15_EUlS14_E_NS1_11comp_targetILNS1_3genE0ELNS1_11target_archE4294967295ELNS1_3gpuE0ELNS1_3repE0EEENS1_30default_config_static_selectorELNS0_4arch9wavefront6targetE1EEEvT1_
; %bb.0:
	.section	.rodata,"a",@progbits
	.p2align	6, 0x0
	.amdhsa_kernel _ZN7rocprim17ROCPRIM_400000_NS6detail17trampoline_kernelINS0_14default_configENS1_25partition_config_selectorILNS1_17partition_subalgoE9EllbEEZZNS1_14partition_implILS5_9ELb0ES3_jPKlN6thrust23THRUST_200600_302600_NS17counting_iteratorIlNSB_11use_defaultESD_SD_EEPNS0_10empty_typeENS0_5tupleIJPlSF_EEENSH_IJSI_SG_EEENS0_18inequality_wrapperIN6hipcub16HIPCUB_304000_NS8EqualityEEESI_JSF_EEE10hipError_tPvRmT3_T4_T5_T6_T7_T9_mT8_P12ihipStream_tbDpT10_ENKUlT_T0_E_clISt17integral_constantIbLb0EES18_IbLb1EEEEDaS14_S15_EUlS14_E_NS1_11comp_targetILNS1_3genE0ELNS1_11target_archE4294967295ELNS1_3gpuE0ELNS1_3repE0EEENS1_30default_config_static_selectorELNS0_4arch9wavefront6targetE1EEEvT1_
		.amdhsa_group_segment_fixed_size 0
		.amdhsa_private_segment_fixed_size 0
		.amdhsa_kernarg_size 128
		.amdhsa_user_sgpr_count 2
		.amdhsa_user_sgpr_dispatch_ptr 0
		.amdhsa_user_sgpr_queue_ptr 0
		.amdhsa_user_sgpr_kernarg_segment_ptr 1
		.amdhsa_user_sgpr_dispatch_id 0
		.amdhsa_user_sgpr_kernarg_preload_length 0
		.amdhsa_user_sgpr_kernarg_preload_offset 0
		.amdhsa_user_sgpr_private_segment_size 0
		.amdhsa_uses_dynamic_stack 0
		.amdhsa_enable_private_segment 0
		.amdhsa_system_sgpr_workgroup_id_x 1
		.amdhsa_system_sgpr_workgroup_id_y 0
		.amdhsa_system_sgpr_workgroup_id_z 0
		.amdhsa_system_sgpr_workgroup_info 0
		.amdhsa_system_vgpr_workitem_id 0
		.amdhsa_next_free_vgpr 1
		.amdhsa_next_free_sgpr 0
		.amdhsa_accum_offset 4
		.amdhsa_reserve_vcc 0
		.amdhsa_float_round_mode_32 0
		.amdhsa_float_round_mode_16_64 0
		.amdhsa_float_denorm_mode_32 3
		.amdhsa_float_denorm_mode_16_64 3
		.amdhsa_dx10_clamp 1
		.amdhsa_ieee_mode 1
		.amdhsa_fp16_overflow 0
		.amdhsa_tg_split 0
		.amdhsa_exception_fp_ieee_invalid_op 0
		.amdhsa_exception_fp_denorm_src 0
		.amdhsa_exception_fp_ieee_div_zero 0
		.amdhsa_exception_fp_ieee_overflow 0
		.amdhsa_exception_fp_ieee_underflow 0
		.amdhsa_exception_fp_ieee_inexact 0
		.amdhsa_exception_int_div_zero 0
	.end_amdhsa_kernel
	.section	.text._ZN7rocprim17ROCPRIM_400000_NS6detail17trampoline_kernelINS0_14default_configENS1_25partition_config_selectorILNS1_17partition_subalgoE9EllbEEZZNS1_14partition_implILS5_9ELb0ES3_jPKlN6thrust23THRUST_200600_302600_NS17counting_iteratorIlNSB_11use_defaultESD_SD_EEPNS0_10empty_typeENS0_5tupleIJPlSF_EEENSH_IJSI_SG_EEENS0_18inequality_wrapperIN6hipcub16HIPCUB_304000_NS8EqualityEEESI_JSF_EEE10hipError_tPvRmT3_T4_T5_T6_T7_T9_mT8_P12ihipStream_tbDpT10_ENKUlT_T0_E_clISt17integral_constantIbLb0EES18_IbLb1EEEEDaS14_S15_EUlS14_E_NS1_11comp_targetILNS1_3genE0ELNS1_11target_archE4294967295ELNS1_3gpuE0ELNS1_3repE0EEENS1_30default_config_static_selectorELNS0_4arch9wavefront6targetE1EEEvT1_,"axG",@progbits,_ZN7rocprim17ROCPRIM_400000_NS6detail17trampoline_kernelINS0_14default_configENS1_25partition_config_selectorILNS1_17partition_subalgoE9EllbEEZZNS1_14partition_implILS5_9ELb0ES3_jPKlN6thrust23THRUST_200600_302600_NS17counting_iteratorIlNSB_11use_defaultESD_SD_EEPNS0_10empty_typeENS0_5tupleIJPlSF_EEENSH_IJSI_SG_EEENS0_18inequality_wrapperIN6hipcub16HIPCUB_304000_NS8EqualityEEESI_JSF_EEE10hipError_tPvRmT3_T4_T5_T6_T7_T9_mT8_P12ihipStream_tbDpT10_ENKUlT_T0_E_clISt17integral_constantIbLb0EES18_IbLb1EEEEDaS14_S15_EUlS14_E_NS1_11comp_targetILNS1_3genE0ELNS1_11target_archE4294967295ELNS1_3gpuE0ELNS1_3repE0EEENS1_30default_config_static_selectorELNS0_4arch9wavefront6targetE1EEEvT1_,comdat
.Lfunc_end68:
	.size	_ZN7rocprim17ROCPRIM_400000_NS6detail17trampoline_kernelINS0_14default_configENS1_25partition_config_selectorILNS1_17partition_subalgoE9EllbEEZZNS1_14partition_implILS5_9ELb0ES3_jPKlN6thrust23THRUST_200600_302600_NS17counting_iteratorIlNSB_11use_defaultESD_SD_EEPNS0_10empty_typeENS0_5tupleIJPlSF_EEENSH_IJSI_SG_EEENS0_18inequality_wrapperIN6hipcub16HIPCUB_304000_NS8EqualityEEESI_JSF_EEE10hipError_tPvRmT3_T4_T5_T6_T7_T9_mT8_P12ihipStream_tbDpT10_ENKUlT_T0_E_clISt17integral_constantIbLb0EES18_IbLb1EEEEDaS14_S15_EUlS14_E_NS1_11comp_targetILNS1_3genE0ELNS1_11target_archE4294967295ELNS1_3gpuE0ELNS1_3repE0EEENS1_30default_config_static_selectorELNS0_4arch9wavefront6targetE1EEEvT1_, .Lfunc_end68-_ZN7rocprim17ROCPRIM_400000_NS6detail17trampoline_kernelINS0_14default_configENS1_25partition_config_selectorILNS1_17partition_subalgoE9EllbEEZZNS1_14partition_implILS5_9ELb0ES3_jPKlN6thrust23THRUST_200600_302600_NS17counting_iteratorIlNSB_11use_defaultESD_SD_EEPNS0_10empty_typeENS0_5tupleIJPlSF_EEENSH_IJSI_SG_EEENS0_18inequality_wrapperIN6hipcub16HIPCUB_304000_NS8EqualityEEESI_JSF_EEE10hipError_tPvRmT3_T4_T5_T6_T7_T9_mT8_P12ihipStream_tbDpT10_ENKUlT_T0_E_clISt17integral_constantIbLb0EES18_IbLb1EEEEDaS14_S15_EUlS14_E_NS1_11comp_targetILNS1_3genE0ELNS1_11target_archE4294967295ELNS1_3gpuE0ELNS1_3repE0EEENS1_30default_config_static_selectorELNS0_4arch9wavefront6targetE1EEEvT1_
                                        ; -- End function
	.section	.AMDGPU.csdata,"",@progbits
; Kernel info:
; codeLenInByte = 0
; NumSgprs: 6
; NumVgprs: 0
; NumAgprs: 0
; TotalNumVgprs: 0
; ScratchSize: 0
; MemoryBound: 0
; FloatMode: 240
; IeeeMode: 1
; LDSByteSize: 0 bytes/workgroup (compile time only)
; SGPRBlocks: 0
; VGPRBlocks: 0
; NumSGPRsForWavesPerEU: 6
; NumVGPRsForWavesPerEU: 1
; AccumOffset: 4
; Occupancy: 8
; WaveLimiterHint : 0
; COMPUTE_PGM_RSRC2:SCRATCH_EN: 0
; COMPUTE_PGM_RSRC2:USER_SGPR: 2
; COMPUTE_PGM_RSRC2:TRAP_HANDLER: 0
; COMPUTE_PGM_RSRC2:TGID_X_EN: 1
; COMPUTE_PGM_RSRC2:TGID_Y_EN: 0
; COMPUTE_PGM_RSRC2:TGID_Z_EN: 0
; COMPUTE_PGM_RSRC2:TIDIG_COMP_CNT: 0
; COMPUTE_PGM_RSRC3_GFX90A:ACCUM_OFFSET: 0
; COMPUTE_PGM_RSRC3_GFX90A:TG_SPLIT: 0
	.section	.text._ZN7rocprim17ROCPRIM_400000_NS6detail17trampoline_kernelINS0_14default_configENS1_25partition_config_selectorILNS1_17partition_subalgoE9EllbEEZZNS1_14partition_implILS5_9ELb0ES3_jPKlN6thrust23THRUST_200600_302600_NS17counting_iteratorIlNSB_11use_defaultESD_SD_EEPNS0_10empty_typeENS0_5tupleIJPlSF_EEENSH_IJSI_SG_EEENS0_18inequality_wrapperIN6hipcub16HIPCUB_304000_NS8EqualityEEESI_JSF_EEE10hipError_tPvRmT3_T4_T5_T6_T7_T9_mT8_P12ihipStream_tbDpT10_ENKUlT_T0_E_clISt17integral_constantIbLb0EES18_IbLb1EEEEDaS14_S15_EUlS14_E_NS1_11comp_targetILNS1_3genE5ELNS1_11target_archE942ELNS1_3gpuE9ELNS1_3repE0EEENS1_30default_config_static_selectorELNS0_4arch9wavefront6targetE1EEEvT1_,"axG",@progbits,_ZN7rocprim17ROCPRIM_400000_NS6detail17trampoline_kernelINS0_14default_configENS1_25partition_config_selectorILNS1_17partition_subalgoE9EllbEEZZNS1_14partition_implILS5_9ELb0ES3_jPKlN6thrust23THRUST_200600_302600_NS17counting_iteratorIlNSB_11use_defaultESD_SD_EEPNS0_10empty_typeENS0_5tupleIJPlSF_EEENSH_IJSI_SG_EEENS0_18inequality_wrapperIN6hipcub16HIPCUB_304000_NS8EqualityEEESI_JSF_EEE10hipError_tPvRmT3_T4_T5_T6_T7_T9_mT8_P12ihipStream_tbDpT10_ENKUlT_T0_E_clISt17integral_constantIbLb0EES18_IbLb1EEEEDaS14_S15_EUlS14_E_NS1_11comp_targetILNS1_3genE5ELNS1_11target_archE942ELNS1_3gpuE9ELNS1_3repE0EEENS1_30default_config_static_selectorELNS0_4arch9wavefront6targetE1EEEvT1_,comdat
	.protected	_ZN7rocprim17ROCPRIM_400000_NS6detail17trampoline_kernelINS0_14default_configENS1_25partition_config_selectorILNS1_17partition_subalgoE9EllbEEZZNS1_14partition_implILS5_9ELb0ES3_jPKlN6thrust23THRUST_200600_302600_NS17counting_iteratorIlNSB_11use_defaultESD_SD_EEPNS0_10empty_typeENS0_5tupleIJPlSF_EEENSH_IJSI_SG_EEENS0_18inequality_wrapperIN6hipcub16HIPCUB_304000_NS8EqualityEEESI_JSF_EEE10hipError_tPvRmT3_T4_T5_T6_T7_T9_mT8_P12ihipStream_tbDpT10_ENKUlT_T0_E_clISt17integral_constantIbLb0EES18_IbLb1EEEEDaS14_S15_EUlS14_E_NS1_11comp_targetILNS1_3genE5ELNS1_11target_archE942ELNS1_3gpuE9ELNS1_3repE0EEENS1_30default_config_static_selectorELNS0_4arch9wavefront6targetE1EEEvT1_ ; -- Begin function _ZN7rocprim17ROCPRIM_400000_NS6detail17trampoline_kernelINS0_14default_configENS1_25partition_config_selectorILNS1_17partition_subalgoE9EllbEEZZNS1_14partition_implILS5_9ELb0ES3_jPKlN6thrust23THRUST_200600_302600_NS17counting_iteratorIlNSB_11use_defaultESD_SD_EEPNS0_10empty_typeENS0_5tupleIJPlSF_EEENSH_IJSI_SG_EEENS0_18inequality_wrapperIN6hipcub16HIPCUB_304000_NS8EqualityEEESI_JSF_EEE10hipError_tPvRmT3_T4_T5_T6_T7_T9_mT8_P12ihipStream_tbDpT10_ENKUlT_T0_E_clISt17integral_constantIbLb0EES18_IbLb1EEEEDaS14_S15_EUlS14_E_NS1_11comp_targetILNS1_3genE5ELNS1_11target_archE942ELNS1_3gpuE9ELNS1_3repE0EEENS1_30default_config_static_selectorELNS0_4arch9wavefront6targetE1EEEvT1_
	.globl	_ZN7rocprim17ROCPRIM_400000_NS6detail17trampoline_kernelINS0_14default_configENS1_25partition_config_selectorILNS1_17partition_subalgoE9EllbEEZZNS1_14partition_implILS5_9ELb0ES3_jPKlN6thrust23THRUST_200600_302600_NS17counting_iteratorIlNSB_11use_defaultESD_SD_EEPNS0_10empty_typeENS0_5tupleIJPlSF_EEENSH_IJSI_SG_EEENS0_18inequality_wrapperIN6hipcub16HIPCUB_304000_NS8EqualityEEESI_JSF_EEE10hipError_tPvRmT3_T4_T5_T6_T7_T9_mT8_P12ihipStream_tbDpT10_ENKUlT_T0_E_clISt17integral_constantIbLb0EES18_IbLb1EEEEDaS14_S15_EUlS14_E_NS1_11comp_targetILNS1_3genE5ELNS1_11target_archE942ELNS1_3gpuE9ELNS1_3repE0EEENS1_30default_config_static_selectorELNS0_4arch9wavefront6targetE1EEEvT1_
	.p2align	8
	.type	_ZN7rocprim17ROCPRIM_400000_NS6detail17trampoline_kernelINS0_14default_configENS1_25partition_config_selectorILNS1_17partition_subalgoE9EllbEEZZNS1_14partition_implILS5_9ELb0ES3_jPKlN6thrust23THRUST_200600_302600_NS17counting_iteratorIlNSB_11use_defaultESD_SD_EEPNS0_10empty_typeENS0_5tupleIJPlSF_EEENSH_IJSI_SG_EEENS0_18inequality_wrapperIN6hipcub16HIPCUB_304000_NS8EqualityEEESI_JSF_EEE10hipError_tPvRmT3_T4_T5_T6_T7_T9_mT8_P12ihipStream_tbDpT10_ENKUlT_T0_E_clISt17integral_constantIbLb0EES18_IbLb1EEEEDaS14_S15_EUlS14_E_NS1_11comp_targetILNS1_3genE5ELNS1_11target_archE942ELNS1_3gpuE9ELNS1_3repE0EEENS1_30default_config_static_selectorELNS0_4arch9wavefront6targetE1EEEvT1_,@function
_ZN7rocprim17ROCPRIM_400000_NS6detail17trampoline_kernelINS0_14default_configENS1_25partition_config_selectorILNS1_17partition_subalgoE9EllbEEZZNS1_14partition_implILS5_9ELb0ES3_jPKlN6thrust23THRUST_200600_302600_NS17counting_iteratorIlNSB_11use_defaultESD_SD_EEPNS0_10empty_typeENS0_5tupleIJPlSF_EEENSH_IJSI_SG_EEENS0_18inequality_wrapperIN6hipcub16HIPCUB_304000_NS8EqualityEEESI_JSF_EEE10hipError_tPvRmT3_T4_T5_T6_T7_T9_mT8_P12ihipStream_tbDpT10_ENKUlT_T0_E_clISt17integral_constantIbLb0EES18_IbLb1EEEEDaS14_S15_EUlS14_E_NS1_11comp_targetILNS1_3genE5ELNS1_11target_archE942ELNS1_3gpuE9ELNS1_3repE0EEENS1_30default_config_static_selectorELNS0_4arch9wavefront6targetE1EEEvT1_: ; @_ZN7rocprim17ROCPRIM_400000_NS6detail17trampoline_kernelINS0_14default_configENS1_25partition_config_selectorILNS1_17partition_subalgoE9EllbEEZZNS1_14partition_implILS5_9ELb0ES3_jPKlN6thrust23THRUST_200600_302600_NS17counting_iteratorIlNSB_11use_defaultESD_SD_EEPNS0_10empty_typeENS0_5tupleIJPlSF_EEENSH_IJSI_SG_EEENS0_18inequality_wrapperIN6hipcub16HIPCUB_304000_NS8EqualityEEESI_JSF_EEE10hipError_tPvRmT3_T4_T5_T6_T7_T9_mT8_P12ihipStream_tbDpT10_ENKUlT_T0_E_clISt17integral_constantIbLb0EES18_IbLb1EEEEDaS14_S15_EUlS14_E_NS1_11comp_targetILNS1_3genE5ELNS1_11target_archE942ELNS1_3gpuE9ELNS1_3repE0EEENS1_30default_config_static_selectorELNS0_4arch9wavefront6targetE1EEEvT1_
; %bb.0:
	s_load_dwordx4 s[4:7], s[0:1], 0x8
	s_load_dwordx2 s[8:9], s[0:1], 0x18
	s_load_dwordx4 s[20:23], s[0:1], 0x40
	s_load_dwordx2 s[10:11], s[0:1], 0x50
	s_load_dwordx2 s[34:35], s[0:1], 0x60
	v_cmp_ne_u32_e64 s[2:3], 0, v0
	v_cmp_eq_u32_e64 s[18:19], 0, v0
	s_and_saveexec_b64 s[12:13], s[18:19]
	s_cbranch_execz .LBB69_4
; %bb.1:
	s_mov_b64 s[16:17], exec
	v_mbcnt_lo_u32_b32 v1, s16, 0
	v_mbcnt_hi_u32_b32 v1, s17, v1
	v_cmp_eq_u32_e32 vcc, 0, v1
                                        ; implicit-def: $vgpr2
	s_and_saveexec_b64 s[14:15], vcc
	s_cbranch_execz .LBB69_3
; %bb.2:
	s_load_dwordx2 s[24:25], s[0:1], 0x70
	s_bcnt1_i32_b64 s16, s[16:17]
	v_mov_b32_e32 v2, 0
	v_mov_b32_e32 v3, s16
	s_waitcnt lgkmcnt(0)
	global_atomic_add v2, v2, v3, s[24:25] sc0
.LBB69_3:
	s_or_b64 exec, exec, s[14:15]
	s_waitcnt vmcnt(0)
	v_readfirstlane_b32 s14, v2
	v_mov_b32_e32 v2, 0
	s_nop 0
	v_add_u32_e32 v1, s14, v1
	ds_write_b32 v2, v1
.LBB69_4:
	s_or_b64 exec, exec, s[12:13]
	v_mov_b32_e32 v1, 0
	s_load_dwordx4 s[24:27], s[0:1], 0x28
	s_load_dword s14, s[0:1], 0x68
	s_waitcnt lgkmcnt(0)
	s_barrier
	ds_read_b32 v6, v1
	s_waitcnt lgkmcnt(0)
	s_barrier
	global_load_dwordx2 v[2:3], v1, s[22:23]
	s_lshl_b64 s[0:1], s[6:7], 3
	s_mul_i32 s15, s14, 0xe00
	s_add_u32 s4, s4, s0
	s_addc_u32 s5, s5, s1
	s_add_i32 s0, s15, s6
	s_add_i32 s14, s14, -1
	s_sub_i32 s38, s10, s0
	s_add_u32 s0, s6, s15
	s_addc_u32 s1, s7, 0
	v_readfirstlane_b32 s33, v6
	v_mov_b32_e32 v4, s10
	v_mov_b32_e32 v5, s11
	s_cmp_eq_u32 s33, s14
	v_cmp_ge_u64_e32 vcc, s[0:1], v[4:5]
	s_cselect_b64 s[28:29], -1, 0
	s_mov_b32 s11, 0
	s_mul_i32 s10, s33, 0xe00
	s_and_b64 s[14:15], vcc, s[28:29]
	s_lshl_b64 s[0:1], s[10:11], 3
	s_xor_b64 s[30:31], s[14:15], -1
	s_add_u32 s0, s4, s0
	s_mov_b64 s[12:13], -1
	s_addc_u32 s1, s5, s1
	s_and_b64 vcc, exec, s[30:31]
	s_waitcnt vmcnt(0)
	v_readfirstlane_b32 s22, v2
	v_readfirstlane_b32 s23, v3
	s_cbranch_vccz .LBB69_6
; %bb.5:
	v_lshlrev_b32_e32 v2, 3, v0
	v_mov_b32_e32 v3, v1
	v_lshl_add_u64 v[4:5], s[0:1], 0, v[2:3]
	v_add_co_u32_e32 v8, vcc, 0x1000, v4
	global_load_dwordx2 v[6:7], v2, s[0:1]
	s_nop 0
	v_addc_co_u32_e32 v9, vcc, 0, v5, vcc
	v_add_co_u32_e32 v10, vcc, 0x2000, v4
	s_mov_b64 s[12:13], 0
	s_nop 0
	v_addc_co_u32_e32 v11, vcc, 0, v5, vcc
	v_add_co_u32_e32 v12, vcc, 0x3000, v4
	s_nop 1
	v_addc_co_u32_e32 v13, vcc, 0, v5, vcc
	v_add_co_u32_e32 v14, vcc, 0x4000, v4
	s_nop 1
	v_addc_co_u32_e32 v15, vcc, 0, v5, vcc
	global_load_dwordx2 v[16:17], v[8:9], off
	global_load_dwordx2 v[18:19], v[10:11], off
	;; [unrolled: 1-line block ×4, first 2 shown]
	v_add_co_u32_e32 v8, vcc, 0x5000, v4
	s_nop 1
	v_addc_co_u32_e32 v9, vcc, 0, v5, vcc
	v_add_co_u32_e32 v4, vcc, 0x6000, v4
	global_load_dwordx2 v[8:9], v[8:9], off
	s_nop 0
	v_addc_co_u32_e32 v5, vcc, 0, v5, vcc
	global_load_dwordx2 v[4:5], v[4:5], off
	s_waitcnt vmcnt(5)
	ds_write2st64_b64 v2, v[6:7], v[16:17] offset1:8
	s_waitcnt vmcnt(3)
	ds_write2st64_b64 v2, v[18:19], v[20:21] offset0:16 offset1:24
	s_waitcnt vmcnt(1)
	ds_write2st64_b64 v2, v[22:23], v[8:9] offset0:32 offset1:40
	s_waitcnt vmcnt(0)
	ds_write_b64 v2, v[4:5] offset:24576
	s_waitcnt lgkmcnt(0)
	s_barrier
.LBB69_6:
	s_andn2_b64 vcc, exec, s[12:13]
	s_addk_i32 s38, 0xe00
	s_cbranch_vccnz .LBB69_22
; %bb.7:
	v_cmp_gt_u32_e32 vcc, s38, v0
                                        ; implicit-def: $vgpr2_vgpr3_vgpr4_vgpr5_vgpr6_vgpr7_vgpr8_vgpr9_vgpr10_vgpr11_vgpr12_vgpr13_vgpr14_vgpr15_vgpr16_vgpr17
	s_and_saveexec_b64 s[4:5], vcc
	s_cbranch_execz .LBB69_9
; %bb.8:
	v_lshlrev_b32_e32 v1, 3, v0
	global_load_dwordx2 v[2:3], v1, s[0:1]
.LBB69_9:
	s_or_b64 exec, exec, s[4:5]
	v_or_b32_e32 v1, 0x200, v0
	v_cmp_gt_u32_e32 vcc, s38, v1
	s_and_saveexec_b64 s[4:5], vcc
	s_cbranch_execz .LBB69_11
; %bb.10:
	v_lshlrev_b32_e32 v1, 3, v1
	global_load_dwordx2 v[4:5], v1, s[0:1]
.LBB69_11:
	s_or_b64 exec, exec, s[4:5]
	v_or_b32_e32 v1, 0x400, v0
	v_cmp_gt_u32_e32 vcc, s38, v1
	;; [unrolled: 9-line block ×6, first 2 shown]
	s_and_saveexec_b64 s[4:5], vcc
	s_cbranch_execz .LBB69_21
; %bb.20:
	v_lshlrev_b32_e32 v1, 3, v1
	global_load_dwordx2 v[14:15], v1, s[0:1]
.LBB69_21:
	s_or_b64 exec, exec, s[4:5]
	v_lshlrev_b32_e32 v1, 3, v0
	s_waitcnt vmcnt(0)
	ds_write2st64_b64 v1, v[2:3], v[4:5] offset1:8
	ds_write2st64_b64 v1, v[6:7], v[8:9] offset0:16 offset1:24
	ds_write2st64_b64 v1, v[10:11], v[12:13] offset0:32 offset1:40
	ds_write_b64 v1, v[14:15] offset:24576
	v_mov_b32_e32 v1, 0
	s_waitcnt lgkmcnt(0)
	s_barrier
.LBB69_22:
	v_mul_u32_u24_e32 v34, 7, v0
	v_lshlrev_b32_e32 v43, 3, v34
	ds_read2_b64 v[22:25], v43 offset1:1
	ds_read2_b64 v[18:21], v43 offset0:2 offset1:3
	ds_read2_b64 v[14:17], v43 offset0:4 offset1:5
	ds_read_b64 v[28:29], v43 offset:48
	s_add_u32 s4, s8, s6
	s_addc_u32 s5, s9, s7
	s_add_u32 s4, s4, s10
	s_addc_u32 s5, s5, 0
	v_lshl_add_u64 v[2:3], v[0:1], 0, s[4:5]
	s_mov_b64 s[8:9], -1
	s_and_b64 vcc, exec, s[30:31]
	s_waitcnt lgkmcnt(0)
	s_barrier
	s_cbranch_vccz .LBB69_24
; %bb.23:
	s_mov_b64 s[8:9], 0x200
	v_lshl_add_u64 v[4:5], v[2:3], 0, s[8:9]
	s_mov_b64 s[8:9], 0x400
	v_lshl_add_u64 v[6:7], v[2:3], 0, s[8:9]
	s_mov_b64 s[8:9], 0x600
	v_lshl_add_u64 v[8:9], v[2:3], 0, s[8:9]
	s_mov_b64 s[8:9], 0x800
	v_lshl_add_u64 v[10:11], v[2:3], 0, s[8:9]
	s_mov_b64 s[8:9], 0xa00
	v_lshl_add_u64 v[12:13], v[2:3], 0, s[8:9]
	s_mov_b64 s[8:9], 0xc00
	v_lshlrev_b32_e32 v1, 3, v0
	v_lshl_add_u64 v[26:27], v[2:3], 0, s[8:9]
	ds_write2st64_b64 v1, v[2:3], v[4:5] offset1:8
	ds_write2st64_b64 v1, v[6:7], v[8:9] offset0:16 offset1:24
	ds_write2st64_b64 v1, v[10:11], v[12:13] offset0:32 offset1:40
	ds_write_b64 v1, v[26:27] offset:24576
	s_waitcnt lgkmcnt(0)
	s_barrier
	s_mov_b64 s[8:9], 0
.LBB69_24:
	s_andn2_b64 vcc, exec, s[8:9]
	s_cbranch_vccnz .LBB69_26
; %bb.25:
	v_or_b32_e32 v4, 0x200, v0
	v_mov_b32_e32 v5, 0
	v_lshl_add_u64 v[6:7], s[4:5], 0, v[4:5]
	v_or_b32_e32 v4, 0x400, v0
	v_lshl_add_u64 v[8:9], s[4:5], 0, v[4:5]
	v_or_b32_e32 v4, 0x600, v0
	;; [unrolled: 2-line block ×5, first 2 shown]
	v_lshl_add_u64 v[4:5], s[4:5], 0, v[4:5]
	s_movk_i32 s4, 0xffd0
	v_mad_i32_i24 v1, v0, s4, v43
	ds_write2st64_b64 v1, v[2:3], v[6:7] offset1:8
	ds_write2st64_b64 v1, v[8:9], v[10:11] offset0:16 offset1:24
	ds_write2st64_b64 v1, v[12:13], v[26:27] offset0:32 offset1:40
	ds_write_b64 v1, v[4:5] offset:24576
	s_waitcnt lgkmcnt(0)
	s_barrier
.LBB69_26:
	ds_read2_b64 v[10:13], v43 offset1:1
	ds_read2_b64 v[6:9], v43 offset0:2 offset1:3
	ds_read2_b64 v[2:5], v43 offset0:4 offset1:5
	ds_read_b64 v[26:27], v43 offset:48
	s_cmp_lg_u32 s33, 0
	s_cselect_b64 s[16:17], -1, 0
	s_cmp_lg_u64 s[6:7], 0
	s_cselect_b64 s[4:5], -1, 0
	s_or_b64 s[4:5], s[4:5], s[16:17]
	v_add_u32_e32 v37, 1, v34
	v_add_u32_e32 v1, 2, v34
	;; [unrolled: 1-line block ×6, first 2 shown]
	s_mov_b64 s[36:37], 0
	s_and_b64 vcc, exec, s[4:5]
	s_waitcnt lgkmcnt(0)
	s_barrier
	s_cbranch_vccz .LBB69_31
; %bb.27:
	v_mov_b32_e32 v30, 0
	global_load_dwordx2 v[30:31], v30, s[0:1] offset:-8
	v_lshlrev_b32_e32 v44, 3, v0
	s_and_b64 vcc, exec, s[30:31]
	ds_write_b64 v44, v[28:29]
	s_cbranch_vccz .LBB69_33
; %bb.28:
	s_waitcnt vmcnt(0)
	v_mov_b64_e32 v[32:33], v[30:31]
	s_waitcnt lgkmcnt(0)
	s_barrier
	s_and_saveexec_b64 s[0:1], s[2:3]
	s_cbranch_execz .LBB69_30
; %bb.29:
	v_add_u32_e32 v32, -8, v44
	ds_read_b64 v[32:33], v32
.LBB69_30:
	s_or_b64 exec, exec, s[0:1]
	v_cmp_ne_u64_e32 vcc, v[16:17], v[28:29]
	s_waitcnt lgkmcnt(0)
	v_cmp_ne_u64_e64 s[0:1], v[32:33], v[22:23]
	v_cndmask_b32_e64 v42, 0, 1, vcc
	v_cmp_ne_u64_e32 vcc, v[14:15], v[16:17]
	s_nop 1
	v_cndmask_b32_e64 v40, 0, 1, vcc
	v_cmp_ne_u64_e32 vcc, v[20:21], v[14:15]
	s_nop 1
	;; [unrolled: 3-line block ×3, first 2 shown]
	v_cndmask_b32_e64 v45, 0, 1, vcc
	v_cmp_ne_u64_e32 vcc, v[24:25], v[18:19]
	v_lshlrev_b16_e32 v32, 8, v45
	s_nop 0
	v_cndmask_b32_e64 v46, 0, 1, vcc
	v_cmp_ne_u64_e32 vcc, v[22:23], v[24:25]
	v_or_b32_sdwa v32, v46, v32 dst_sel:WORD_1 dst_unused:UNUSED_PAD src0_sel:DWORD src1_sel:DWORD
	s_nop 0
	v_cndmask_b32_e64 v47, 0, 1, vcc
	v_lshlrev_b16_e32 v33, 8, v47
	v_or_b32_e32 v32, v33, v32
	s_branch .LBB69_37
.LBB69_31:
                                        ; implicit-def: $sgpr0_sgpr1
                                        ; implicit-def: $vgpr42
                                        ; implicit-def: $vgpr40
                                        ; implicit-def: $vgpr41
                                        ; implicit-def: $vgpr32
	s_branch .LBB69_38
.LBB69_32:
                                        ; implicit-def: $vgpr30_vgpr31
	s_and_saveexec_b64 s[2:3], s[36:37]
	s_cbranch_execnz .LBB69_46
	s_branch .LBB69_47
.LBB69_33:
                                        ; implicit-def: $sgpr0_sgpr1
                                        ; implicit-def: $vgpr42
                                        ; implicit-def: $vgpr40
                                        ; implicit-def: $vgpr41
                                        ; implicit-def: $vgpr32
	s_cbranch_execz .LBB69_37
; %bb.34:
	s_waitcnt lgkmcnt(0)
	s_barrier
	s_and_saveexec_b64 s[0:1], s[2:3]
	s_cbranch_execz .LBB69_36
; %bb.35:
	s_waitcnt vmcnt(0)
	v_add_u32_e32 v30, -8, v44
	ds_read_b64 v[30:31], v30
.LBB69_36:
	s_or_b64 exec, exec, s[0:1]
	v_cmp_gt_u32_e32 vcc, s38, v36
	v_cmp_ne_u64_e64 s[0:1], v[16:17], v[28:29]
	s_and_b64 s[0:1], vcc, s[0:1]
	v_cmp_gt_u32_e32 vcc, s38, v39
	v_cndmask_b32_e64 v42, 0, 1, s[0:1]
	v_cmp_ne_u64_e64 s[0:1], v[14:15], v[16:17]
	s_and_b64 s[0:1], vcc, s[0:1]
	v_cmp_gt_u32_e32 vcc, s38, v35
	v_cndmask_b32_e64 v40, 0, 1, s[0:1]
	;; [unrolled: 4-line block ×6, first 2 shown]
	s_waitcnt vmcnt(0) lgkmcnt(0)
	v_cmp_ne_u64_e64 s[0:1], v[30:31], v[22:23]
	v_lshlrev_b16_e32 v30, 8, v32
	v_or_b32_sdwa v30, v33, v30 dst_sel:WORD_1 dst_unused:UNUSED_PAD src0_sel:DWORD src1_sel:DWORD
	v_lshlrev_b16_e32 v31, 8, v44
	s_and_b64 s[0:1], vcc, s[0:1]
	v_or_b32_e32 v32, v31, v30
.LBB69_37:
	s_mov_b64 s[36:37], -1
	s_cbranch_execnz .LBB69_32
.LBB69_38:
	s_movk_i32 s0, 0xffd0
	v_mad_i32_i24 v33, v0, s0, v43
	s_and_b64 vcc, exec, s[30:31]
	v_cmp_ne_u64_e64 s[0:1], v[16:17], v[28:29]
	v_cmp_ne_u64_e64 s[4:5], v[14:15], v[16:17]
	;; [unrolled: 1-line block ×6, first 2 shown]
	ds_write_b64 v33, v[28:29]
	s_cbranch_vccz .LBB69_42
; %bb.39:
	v_cndmask_b32_e64 v40, 0, 1, s[4:5]
	s_waitcnt vmcnt(0)
	v_cndmask_b32_e64 v30, 0, 1, s[8:9]
	v_cndmask_b32_e64 v41, 0, 1, s[6:7]
	;; [unrolled: 1-line block ×4, first 2 shown]
	v_lshlrev_b16_e32 v31, 8, v40
	v_lshlrev_b16_e32 v30, 8, v30
	v_or_b32_e32 v31, v41, v31
	v_or_b32_sdwa v30, v32, v30 dst_sel:WORD_1 dst_unused:UNUSED_PAD src0_sel:DWORD src1_sel:DWORD
	v_lshlrev_b16_e32 v32, 8, v43
	v_and_b32_e32 v31, 0xffff, v31
	v_cndmask_b32_e64 v42, 0, 1, s[0:1]
	v_or_b32_e32 v32, 1, v32
	v_lshl_or_b32 v31, v42, 16, v31
	v_or_b32_sdwa v30, v32, v30 dst_sel:DWORD dst_unused:UNUSED_PAD src0_sel:WORD_0 src1_sel:DWORD
	s_waitcnt lgkmcnt(0)
	s_barrier
	s_waitcnt lgkmcnt(0)
                                        ; implicit-def: $sgpr0_sgpr1
                                        ; implicit-def: $vgpr32
	s_and_saveexec_b64 s[4:5], s[2:3]
	s_xor_b64 s[4:5], exec, s[4:5]
	s_cbranch_execz .LBB69_41
; %bb.40:
	v_add_u32_e32 v31, -8, v33
	ds_read_b64 v[44:45], v31
	s_mov_b32 s0, 0x3020104
	v_perm_b32 v32, v30, v30, s0
	s_or_b64 s[36:37], s[36:37], exec
                                        ; implicit-def: $vgpr30_vgpr31
	s_waitcnt lgkmcnt(0)
	v_cmp_ne_u64_e32 vcc, v[44:45], v[22:23]
	s_and_b64 s[0:1], vcc, exec
.LBB69_41:
	s_or_b64 exec, exec, s[4:5]
	s_branch .LBB69_45
.LBB69_42:
                                        ; implicit-def: $sgpr0_sgpr1
                                        ; implicit-def: $vgpr42
                                        ; implicit-def: $vgpr40
                                        ; implicit-def: $vgpr41
                                        ; implicit-def: $vgpr32
                                        ; implicit-def: $vgpr30_vgpr31
	s_cbranch_execz .LBB69_45
; %bb.43:
	v_cmp_gt_u32_e64 s[4:5], s38, v39
	v_cmp_ne_u64_e64 s[6:7], v[14:15], v[16:17]
	s_and_b64 s[4:5], s[4:5], s[6:7]
	v_cndmask_b32_e64 v40, 0, 1, s[4:5]
	v_cmp_gt_u32_e64 s[4:5], s38, v35
	v_cmp_ne_u64_e64 s[6:7], v[20:21], v[14:15]
	s_and_b64 s[4:5], s[4:5], s[6:7]
	v_cndmask_b32_e64 v41, 0, 1, s[4:5]
	v_cmp_gt_u32_e64 s[4:5], s38, v38
	v_cmp_ne_u64_e64 s[6:7], v[18:19], v[20:21]
	s_and_b64 s[4:5], s[4:5], s[6:7]
	s_waitcnt vmcnt(0)
	v_cndmask_b32_e64 v30, 0, 1, s[4:5]
	v_cmp_gt_u32_e64 s[4:5], s38, v1
	v_cmp_ne_u64_e64 s[6:7], v[24:25], v[18:19]
	s_and_b64 s[4:5], s[4:5], s[6:7]
	v_cndmask_b32_e64 v32, 0, 1, s[4:5]
	v_cmp_gt_u32_e64 s[4:5], s38, v37
	v_cmp_ne_u64_e64 s[6:7], v[22:23], v[24:25]
	s_and_b64 s[4:5], s[4:5], s[6:7]
	v_cmp_gt_u32_e32 vcc, s38, v36
	v_cmp_ne_u64_e64 s[0:1], v[16:17], v[28:29]
	v_cndmask_b32_e64 v43, 0, 1, s[4:5]
	v_lshlrev_b16_e32 v31, 8, v40
	v_lshlrev_b16_e32 v30, 8, v30
	v_or_b32_e32 v31, v41, v31
	s_and_b64 s[0:1], vcc, s[0:1]
	v_or_b32_sdwa v30, v32, v30 dst_sel:WORD_1 dst_unused:UNUSED_PAD src0_sel:DWORD src1_sel:DWORD
	v_lshlrev_b16_e32 v32, 8, v43
	v_and_b32_e32 v31, 0xffff, v31
	v_cndmask_b32_e64 v42, 0, 1, s[0:1]
	v_or_b32_e32 v32, 1, v32
	v_lshl_or_b32 v31, v42, 16, v31
	v_or_b32_sdwa v30, v32, v30 dst_sel:DWORD dst_unused:UNUSED_PAD src0_sel:WORD_0 src1_sel:DWORD
	s_waitcnt lgkmcnt(0)
	s_barrier
	s_waitcnt lgkmcnt(0)
                                        ; implicit-def: $sgpr0_sgpr1
                                        ; implicit-def: $vgpr32
	s_and_saveexec_b64 s[4:5], s[2:3]
	s_cbranch_execz .LBB69_173
; %bb.44:
	v_add_u32_e32 v31, -8, v33
	ds_read_b64 v[44:45], v31
	s_mov_b32 s0, 0x3020104
	v_cmp_gt_u32_e32 vcc, s38, v34
	v_perm_b32 v32, v30, v30, s0
	s_or_b64 s[36:37], s[36:37], exec
	s_waitcnt lgkmcnt(0)
	v_cmp_ne_u64_e64 s[0:1], v[44:45], v[22:23]
	s_and_b64 s[0:1], vcc, s[0:1]
	s_and_b64 s[0:1], s[0:1], exec
                                        ; implicit-def: $vgpr30_vgpr31
	s_or_b64 exec, exec, s[4:5]
.LBB69_45:
	s_and_saveexec_b64 s[2:3], s[36:37]
	s_cbranch_execz .LBB69_47
.LBB69_46:
	s_waitcnt vmcnt(0)
	v_lshlrev_b16_e32 v31, 8, v40
	v_and_b32_e32 v33, 0xff, v42
	v_or_b32_sdwa v31, v41, v31 dst_sel:DWORD dst_unused:UNUSED_PAD src0_sel:BYTE_0 src1_sel:DWORD
	v_lshlrev_b32_e32 v33, 16, v33
	v_cndmask_b32_e64 v30, 0, 1, s[0:1]
	s_movk_i32 s0, 0xff
	v_or_b32_sdwa v31, v31, v33 dst_sel:DWORD dst_unused:UNUSED_PAD src0_sel:WORD_0 src1_sel:DWORD
	v_lshrrev_b32_e32 v33, 24, v32
	v_lshlrev_b16_e32 v33, 8, v33
	v_and_b32_sdwa v40, v32, s0 dst_sel:DWORD dst_unused:UNUSED_PAD src0_sel:WORD_1 src1_sel:DWORD
	v_or_b32_sdwa v33, v40, v33 dst_sel:WORD_1 dst_unused:UNUSED_PAD src0_sel:DWORD src1_sel:DWORD
	v_mov_b32_e32 v40, 8
	v_lshrrev_b32_sdwa v32, v40, v32 dst_sel:BYTE_1 dst_unused:UNUSED_PAD src0_sel:DWORD src1_sel:DWORD
	s_nop 0
	v_or_b32_e32 v30, v30, v32
	v_or_b32_sdwa v30, v30, v33 dst_sel:DWORD dst_unused:UNUSED_PAD src0_sel:WORD_0 src1_sel:DWORD
.LBB69_47:
	s_or_b64 exec, exec, s[2:3]
	s_andn2_b64 vcc, exec, s[14:15]
	s_cbranch_vccnz .LBB69_49
; %bb.48:
	s_waitcnt vmcnt(0)
	v_and_b32_e32 v32, 0xffff0000, v30
	v_cmp_gt_u32_e32 vcc, s38, v34
	s_mov_b32 s0, 0x40c0100
	s_nop 0
	v_cndmask_b32_e32 v32, v32, v30, vcc
	v_and_b32_e32 v32, 0xffff00ff, v32
	v_cmp_gt_u32_e32 vcc, s38, v37
	s_nop 1
	v_cndmask_b32_e32 v32, v32, v30, vcc
	v_lshrrev_b32_e32 v33, 24, v32
	v_perm_b32 v32, v33, v32, s0
	v_cmp_gt_u32_e32 vcc, s38, v1
	s_nop 1
	v_cndmask_b32_e32 v1, v32, v30, vcc
	v_and_b32_e32 v1, 0xffffff, v1
	v_cmp_gt_u32_e32 vcc, s38, v38
	v_and_b32_e32 v32, 0xffffff00, v31
	s_nop 0
	v_cndmask_b32_e32 v1, v1, v30, vcc
	v_cmp_gt_u32_e32 vcc, s38, v35
	s_nop 1
	v_cndmask_b32_e32 v32, v32, v31, vcc
	v_and_b32_e32 v32, 0xffff00ff, v32
	v_cndmask_b32_e32 v1, v1, v30, vcc
	v_cmp_gt_u32_e32 vcc, s38, v39
	s_nop 1
	v_cndmask_b32_e32 v32, v32, v31, vcc
	v_lshrrev_b32_e32 v33, 24, v32
	v_cndmask_b32_e32 v1, v1, v30, vcc
	v_perm_b32 v32, v33, v32, s0
	v_cmp_gt_u32_e32 vcc, s38, v36
	s_mov_b32 s0, 0x3020104
	s_nop 0
	v_cndmask_b32_e32 v1, v1, v30, vcc
	v_cndmask_b32_e32 v30, v32, v31, vcc
	v_mov_b32_e32 v31, 8
	v_lshrrev_b32_sdwa v31, v31, v30 dst_sel:BYTE_1 dst_unused:UNUSED_PAD src0_sel:DWORD src1_sel:DWORD
	s_nop 0
	v_or_b32_sdwa v31, v30, v31 dst_sel:DWORD dst_unused:UNUSED_PAD src0_sel:BYTE_0 src1_sel:DWORD
	v_and_b32_e32 v31, 0xffff, v31
	v_bfe_u32 v30, v30, 16, 8
	v_lshl_or_b32 v31, v30, 16, v31
	v_perm_b32 v30, v1, v1, s0
.LBB69_49:
	s_waitcnt vmcnt(0)
	v_and_b32_e32 v1, 0xff, v30
	v_bfe_u32 v43, v30, 8, 8
	v_bfe_u32 v45, v30, 16, 8
	v_alignbit_b32 v32, v31, v30, 24
	v_and_b32_e32 v47, 0xff, v32
	v_and_b32_e32 v48, 0xff, v31
	v_add3_u32 v33, v43, v1, v45
	v_bfe_u32 v49, v31, 8, 8
	v_bfe_u32 v32, v31, 16, 8
	v_add3_u32 v33, v33, v47, v48
	v_add3_u32 v52, v33, v49, v32
	v_mbcnt_lo_u32_b32 v32, -1, 0
	v_mbcnt_hi_u32_b32 v50, -1, v32
	v_and_b32_e32 v32, 15, v50
	v_cmp_eq_u32_e64 s[14:15], 0, v32
	v_cmp_lt_u32_e64 s[12:13], 1, v32
	v_cmp_lt_u32_e64 s[10:11], 3, v32
	;; [unrolled: 1-line block ×3, first 2 shown]
	v_and_b32_e32 v32, 16, v50
	v_cmp_eq_u32_e64 s[6:7], 0, v32
	v_or_b32_e32 v32, 63, v0
	v_cmp_lt_u32_e64 s[2:3], 31, v50
	v_lshrrev_b32_e32 v51, 6, v0
	v_cmp_eq_u32_e64 s[4:5], v32, v0
	s_and_b64 vcc, exec, s[16:17]
	s_waitcnt lgkmcnt(0)
	s_barrier
	s_cbranch_vccz .LBB69_76
; %bb.50:
	v_mov_b32_dpp v32, v52 row_shr:1 row_mask:0xf bank_mask:0xf
	v_cndmask_b32_e64 v32, v32, 0, s[14:15]
	v_add_u32_e32 v32, v32, v52
	s_nop 1
	v_mov_b32_dpp v33, v32 row_shr:2 row_mask:0xf bank_mask:0xf
	v_cndmask_b32_e64 v33, 0, v33, s[12:13]
	v_add_u32_e32 v32, v32, v33
	s_nop 1
	v_mov_b32_dpp v33, v32 row_shr:4 row_mask:0xf bank_mask:0xf
	v_cndmask_b32_e64 v33, 0, v33, s[10:11]
	v_add_u32_e32 v32, v32, v33
	s_nop 1
	v_mov_b32_dpp v33, v32 row_shr:8 row_mask:0xf bank_mask:0xf
	v_cndmask_b32_e64 v33, 0, v33, s[8:9]
	v_add_u32_e32 v32, v32, v33
	s_nop 1
	v_mov_b32_dpp v33, v32 row_bcast:15 row_mask:0xf bank_mask:0xf
	v_cndmask_b32_e64 v33, v33, 0, s[6:7]
	v_add_u32_e32 v32, v32, v33
	s_nop 1
	v_mov_b32_dpp v33, v32 row_bcast:31 row_mask:0xf bank_mask:0xf
	v_cndmask_b32_e64 v33, 0, v33, s[2:3]
	v_add_u32_e32 v32, v32, v33
	s_and_saveexec_b64 s[0:1], s[4:5]
	s_cbranch_execz .LBB69_52
; %bb.51:
	v_lshlrev_b32_e32 v33, 2, v51
	ds_write_b32 v33, v32
.LBB69_52:
	s_or_b64 exec, exec, s[0:1]
	v_cmp_gt_u32_e32 vcc, 8, v0
	s_waitcnt lgkmcnt(0)
	s_barrier
	s_and_saveexec_b64 s[0:1], vcc
	s_cbranch_execz .LBB69_54
; %bb.53:
	v_lshlrev_b32_e32 v33, 2, v0
	ds_read_b32 v34, v33
	v_and_b32_e32 v35, 7, v50
	v_cmp_ne_u32_e32 vcc, 0, v35
	s_waitcnt lgkmcnt(0)
	v_mov_b32_dpp v36, v34 row_shr:1 row_mask:0xf bank_mask:0xf
	v_cndmask_b32_e32 v36, 0, v36, vcc
	v_add_u32_e32 v34, v36, v34
	v_cmp_lt_u32_e32 vcc, 1, v35
	s_nop 0
	v_mov_b32_dpp v36, v34 row_shr:2 row_mask:0xf bank_mask:0xf
	v_cndmask_b32_e32 v36, 0, v36, vcc
	v_add_u32_e32 v34, v34, v36
	v_cmp_lt_u32_e32 vcc, 3, v35
	s_nop 0
	v_mov_b32_dpp v36, v34 row_shr:4 row_mask:0xf bank_mask:0xf
	v_cndmask_b32_e32 v35, 0, v36, vcc
	v_add_u32_e32 v34, v34, v35
	ds_write_b32 v33, v34
.LBB69_54:
	s_or_b64 exec, exec, s[0:1]
	v_cmp_gt_u32_e32 vcc, 64, v0
	v_cmp_lt_u32_e64 s[0:1], 63, v0
	s_waitcnt lgkmcnt(0)
	s_barrier
	s_waitcnt lgkmcnt(0)
                                        ; implicit-def: $vgpr42
	s_and_saveexec_b64 s[16:17], s[0:1]
	s_cbranch_execz .LBB69_56
; %bb.55:
	v_lshl_add_u32 v33, v51, 2, -4
	ds_read_b32 v42, v33
	s_waitcnt lgkmcnt(0)
	v_add_u32_e32 v32, v42, v32
.LBB69_56:
	s_or_b64 exec, exec, s[16:17]
	v_add_u32_e32 v33, -1, v50
	v_and_b32_e32 v34, 64, v50
	v_cmp_lt_i32_e64 s[0:1], v33, v34
	v_cmp_eq_u32_e64 s[16:17], 0, v50
	s_nop 0
	v_cndmask_b32_e64 v33, v33, v50, s[0:1]
	v_lshlrev_b32_e32 v33, 2, v33
	ds_bpermute_b32 v44, v33, v32
	s_and_saveexec_b64 s[0:1], vcc
	s_cbranch_execz .LBB69_75
; %bb.57:
	v_mov_b32_e32 v39, 0
	ds_read_b32 v32, v39 offset:28
	s_and_saveexec_b64 s[36:37], s[16:17]
	s_cbranch_execz .LBB69_59
; %bb.58:
	s_add_i32 s38, s33, 64
	s_mov_b32 s39, 0
	s_lshl_b64 s[38:39], s[38:39], 3
	s_add_u32 s38, s34, s38
	v_mov_b32_e32 v33, 1
	s_addc_u32 s39, s35, s39
	s_waitcnt lgkmcnt(0)
	global_store_dwordx2 v39, v[32:33], s[38:39] sc1
.LBB69_59:
	s_or_b64 exec, exec, s[36:37]
	v_xad_u32 v34, v50, -1, s33
	v_add_u32_e32 v38, 64, v34
	v_lshl_add_u64 v[40:41], v[38:39], 3, s[34:35]
	global_load_dwordx2 v[36:37], v[40:41], off sc1
	s_waitcnt vmcnt(0)
	v_cmp_eq_u16_sdwa s[38:39], v37, v39 src0_sel:BYTE_0 src1_sel:DWORD
	s_and_saveexec_b64 s[36:37], s[38:39]
	s_cbranch_execz .LBB69_63
; %bb.60:
	s_mov_b64 s[38:39], 0
	v_mov_b32_e32 v33, 0
.LBB69_61:                              ; =>This Inner Loop Header: Depth=1
	global_load_dwordx2 v[36:37], v[40:41], off sc1
	s_waitcnt vmcnt(0)
	v_cmp_ne_u16_sdwa s[40:41], v37, v33 src0_sel:BYTE_0 src1_sel:DWORD
	s_or_b64 s[38:39], s[40:41], s[38:39]
	s_andn2_b64 exec, exec, s[38:39]
	s_cbranch_execnz .LBB69_61
; %bb.62:
	s_or_b64 exec, exec, s[38:39]
.LBB69_63:
	s_or_b64 exec, exec, s[36:37]
	v_and_b32_e32 v53, 63, v50
	v_mov_b32_e32 v46, 2
	v_cmp_ne_u32_e32 vcc, 63, v53
	v_cmp_eq_u16_sdwa s[36:37], v37, v46 src0_sel:BYTE_0 src1_sel:DWORD
	v_lshlrev_b64 v[38:39], v50, -1
	v_addc_co_u32_e32 v40, vcc, 0, v50, vcc
	v_and_b32_e32 v33, s37, v39
	v_lshlrev_b32_e32 v54, 2, v40
	v_or_b32_e32 v33, 0x80000000, v33
	ds_bpermute_b32 v40, v54, v36
	v_and_b32_e32 v35, s36, v38
	v_ffbl_b32_e32 v33, v33
	v_add_u32_e32 v33, 32, v33
	v_ffbl_b32_e32 v35, v35
	v_min_u32_e32 v33, v35, v33
	v_cmp_lt_u32_e32 vcc, v53, v33
	v_add_u32_e32 v56, 2, v53
	v_add_u32_e32 v58, 4, v53
	s_waitcnt lgkmcnt(0)
	v_cndmask_b32_e32 v35, 0, v40, vcc
	v_cmp_gt_u32_e32 vcc, 62, v53
	v_add_u32_e32 v35, v35, v36
	v_add_u32_e32 v60, 8, v53
	v_cndmask_b32_e64 v36, 0, 1, vcc
	v_lshlrev_b32_e32 v36, 1, v36
	v_add_lshl_u32 v55, v36, v50, 2
	ds_bpermute_b32 v36, v55, v35
	v_cmp_le_u32_e32 vcc, v56, v33
	v_add_u32_e32 v62, 16, v53
	v_add_u32_e32 v64, 32, v53
	s_waitcnt lgkmcnt(0)
	v_cndmask_b32_e32 v36, 0, v36, vcc
	v_cmp_gt_u32_e32 vcc, 60, v53
	v_add_u32_e32 v35, v35, v36
	s_nop 0
	v_cndmask_b32_e64 v36, 0, 1, vcc
	v_lshlrev_b32_e32 v36, 2, v36
	v_add_lshl_u32 v57, v36, v50, 2
	ds_bpermute_b32 v36, v57, v35
	v_cmp_le_u32_e32 vcc, v58, v33
	s_waitcnt lgkmcnt(0)
	s_nop 0
	v_cndmask_b32_e32 v36, 0, v36, vcc
	v_cmp_gt_u32_e32 vcc, 56, v53
	v_add_u32_e32 v35, v35, v36
	s_nop 0
	v_cndmask_b32_e64 v36, 0, 1, vcc
	v_lshlrev_b32_e32 v36, 3, v36
	v_add_lshl_u32 v59, v36, v50, 2
	ds_bpermute_b32 v36, v59, v35
	v_cmp_le_u32_e32 vcc, v60, v33
	s_waitcnt lgkmcnt(0)
	s_nop 0
	;; [unrolled: 11-line block ×4, first 2 shown]
	v_cndmask_b32_e32 v33, 0, v36, vcc
	v_add_u32_e32 v36, v35, v33
	v_mov_b32_e32 v35, 0
	s_branch .LBB69_65
.LBB69_64:                              ;   in Loop: Header=BB69_65 Depth=1
	s_or_b64 exec, exec, s[36:37]
	v_cmp_eq_u16_sdwa s[36:37], v37, v46 src0_sel:BYTE_0 src1_sel:DWORD
	ds_bpermute_b32 v65, v54, v36
	v_subrev_u32_e32 v34, 64, v34
	v_and_b32_e32 v40, s37, v39
	v_or_b32_e32 v40, 0x80000000, v40
	v_and_b32_e32 v41, s36, v38
	v_ffbl_b32_e32 v40, v40
	v_add_u32_e32 v40, 32, v40
	v_ffbl_b32_e32 v41, v41
	v_min_u32_e32 v40, v41, v40
	v_cmp_lt_u32_e32 vcc, v53, v40
	s_waitcnt lgkmcnt(0)
	s_nop 0
	v_cndmask_b32_e32 v41, 0, v65, vcc
	v_add_u32_e32 v36, v41, v36
	ds_bpermute_b32 v41, v55, v36
	v_cmp_le_u32_e32 vcc, v56, v40
	s_waitcnt lgkmcnt(0)
	s_nop 0
	v_cndmask_b32_e32 v41, 0, v41, vcc
	v_add_u32_e32 v36, v36, v41
	ds_bpermute_b32 v41, v57, v36
	v_cmp_le_u32_e32 vcc, v58, v40
	;; [unrolled: 6-line block ×5, first 2 shown]
	s_waitcnt lgkmcnt(0)
	s_nop 0
	v_cndmask_b32_e32 v40, 0, v41, vcc
	v_add3_u32 v36, v40, v33, v36
.LBB69_65:                              ; =>This Loop Header: Depth=1
                                        ;     Child Loop BB69_68 Depth 2
	v_cmp_ne_u16_sdwa s[36:37], v37, v46 src0_sel:BYTE_0 src1_sel:DWORD
	s_nop 1
	v_cndmask_b32_e64 v33, 0, 1, s[36:37]
	;;#ASMSTART
	;;#ASMEND
	s_nop 0
	v_cmp_ne_u32_e32 vcc, 0, v33
	s_cmp_lg_u64 vcc, exec
	v_mov_b32_e32 v33, v36
	s_cbranch_scc1 .LBB69_70
; %bb.66:                               ;   in Loop: Header=BB69_65 Depth=1
	v_lshl_add_u64 v[40:41], v[34:35], 3, s[34:35]
	global_load_dwordx2 v[36:37], v[40:41], off sc1
	s_waitcnt vmcnt(0)
	v_cmp_eq_u16_sdwa s[38:39], v37, v35 src0_sel:BYTE_0 src1_sel:DWORD
	s_and_saveexec_b64 s[36:37], s[38:39]
	s_cbranch_execz .LBB69_64
; %bb.67:                               ;   in Loop: Header=BB69_65 Depth=1
	s_mov_b64 s[38:39], 0
.LBB69_68:                              ;   Parent Loop BB69_65 Depth=1
                                        ; =>  This Inner Loop Header: Depth=2
	global_load_dwordx2 v[36:37], v[40:41], off sc1
	s_waitcnt vmcnt(0)
	v_cmp_ne_u16_sdwa s[40:41], v37, v35 src0_sel:BYTE_0 src1_sel:DWORD
	s_or_b64 s[38:39], s[40:41], s[38:39]
	s_andn2_b64 exec, exec, s[38:39]
	s_cbranch_execnz .LBB69_68
; %bb.69:                               ;   in Loop: Header=BB69_65 Depth=1
	s_or_b64 exec, exec, s[38:39]
	s_branch .LBB69_64
.LBB69_70:                              ;   in Loop: Header=BB69_65 Depth=1
                                        ; implicit-def: $vgpr36
                                        ; implicit-def: $vgpr37
	s_cbranch_execz .LBB69_65
; %bb.71:
	s_and_saveexec_b64 s[36:37], s[16:17]
	s_cbranch_execz .LBB69_73
; %bb.72:
	s_add_i32 s38, s33, 64
	s_mov_b32 s39, 0
	s_lshl_b64 s[38:39], s[38:39], 3
	s_add_u32 s38, s34, s38
	v_add_u32_e32 v34, v33, v32
	v_mov_b32_e32 v35, 2
	s_addc_u32 s39, s35, s39
	v_mov_b32_e32 v36, 0
	global_store_dwordx2 v36, v[34:35], s[38:39] sc1
	ds_write_b64 v36, v[32:33] offset:28672
.LBB69_73:
	s_or_b64 exec, exec, s[36:37]
	s_and_b64 exec, exec, s[18:19]
	s_cbranch_execz .LBB69_75
; %bb.74:
	v_mov_b32_e32 v32, 0
	ds_write_b32 v32, v33 offset:28
.LBB69_75:
	s_or_b64 exec, exec, s[0:1]
	v_mov_b32_e32 v32, 0
	s_waitcnt lgkmcnt(0)
	s_barrier
	ds_read_b32 v33, v32 offset:28
	v_cndmask_b32_e64 v34, v44, v42, s[16:17]
	v_cndmask_b32_e64 v34, v34, 0, s[18:19]
	s_waitcnt lgkmcnt(0)
	s_barrier
	v_add_u32_e32 v46, v33, v34
	v_add_u32_e32 v44, v46, v1
	ds_read_b64 v[32:33], v32 offset:28672
	v_add_u32_e32 v42, v44, v43
	v_add_u32_e32 v40, v42, v45
	;; [unrolled: 1-line block ×5, first 2 shown]
	s_waitcnt lgkmcnt(0)
	v_readfirstlane_b32 s33, v32
	v_readfirstlane_b32 s16, v33
	v_lshrrev_b64 v[32:33], 24, v[30:31]
	s_branch .LBB69_86
.LBB69_76:
                                        ; implicit-def: $sgpr16
                                        ; implicit-def: $sgpr33
                                        ; implicit-def: $vgpr34
                                        ; implicit-def: $vgpr36
                                        ; implicit-def: $vgpr38
                                        ; implicit-def: $vgpr40
                                        ; implicit-def: $vgpr42
                                        ; implicit-def: $vgpr44
                                        ; implicit-def: $vgpr46
	v_lshrrev_b64 v[32:33], 24, v[30:31]
	s_cbranch_execz .LBB69_86
; %bb.77:
	s_nop 0
	v_mov_b32_dpp v33, v52 row_shr:1 row_mask:0xf bank_mask:0xf
	v_cndmask_b32_e64 v33, v33, 0, s[14:15]
	v_add_u32_e32 v33, v33, v52
	s_nop 1
	v_mov_b32_dpp v34, v33 row_shr:2 row_mask:0xf bank_mask:0xf
	v_cndmask_b32_e64 v34, 0, v34, s[12:13]
	v_add_u32_e32 v33, v33, v34
	s_nop 1
	v_mov_b32_dpp v34, v33 row_shr:4 row_mask:0xf bank_mask:0xf
	v_cndmask_b32_e64 v34, 0, v34, s[10:11]
	v_add_u32_e32 v33, v33, v34
	s_nop 1
	v_mov_b32_dpp v34, v33 row_shr:8 row_mask:0xf bank_mask:0xf
	v_cndmask_b32_e64 v34, 0, v34, s[8:9]
	v_add_u32_e32 v33, v33, v34
	s_nop 1
	v_mov_b32_dpp v34, v33 row_bcast:15 row_mask:0xf bank_mask:0xf
	v_cndmask_b32_e64 v34, v34, 0, s[6:7]
	v_add_u32_e32 v33, v33, v34
	s_nop 1
	v_mov_b32_dpp v34, v33 row_bcast:31 row_mask:0xf bank_mask:0xf
	v_cndmask_b32_e64 v34, 0, v34, s[2:3]
	v_add_u32_e32 v33, v33, v34
	s_and_saveexec_b64 s[0:1], s[4:5]
	s_cbranch_execz .LBB69_79
; %bb.78:
	v_lshlrev_b32_e32 v34, 2, v51
	ds_write_b32 v34, v33
.LBB69_79:
	s_or_b64 exec, exec, s[0:1]
	v_cmp_gt_u32_e32 vcc, 8, v0
	s_waitcnt lgkmcnt(0)
	s_barrier
	s_and_saveexec_b64 s[0:1], vcc
	s_cbranch_execz .LBB69_81
; %bb.80:
	v_lshlrev_b32_e32 v34, 2, v0
	ds_read_b32 v35, v34
	v_and_b32_e32 v36, 7, v50
	v_cmp_ne_u32_e32 vcc, 0, v36
	s_waitcnt lgkmcnt(0)
	v_mov_b32_dpp v37, v35 row_shr:1 row_mask:0xf bank_mask:0xf
	v_cndmask_b32_e32 v37, 0, v37, vcc
	v_add_u32_e32 v35, v37, v35
	v_cmp_lt_u32_e32 vcc, 1, v36
	s_nop 0
	v_mov_b32_dpp v37, v35 row_shr:2 row_mask:0xf bank_mask:0xf
	v_cndmask_b32_e32 v37, 0, v37, vcc
	v_add_u32_e32 v35, v35, v37
	v_cmp_lt_u32_e32 vcc, 3, v36
	s_nop 0
	v_mov_b32_dpp v37, v35 row_shr:4 row_mask:0xf bank_mask:0xf
	v_cndmask_b32_e32 v36, 0, v37, vcc
	v_add_u32_e32 v35, v35, v36
	ds_write_b32 v34, v35
.LBB69_81:
	s_or_b64 exec, exec, s[0:1]
	v_cmp_lt_u32_e32 vcc, 63, v0
	v_mov_b32_e32 v35, 0
	v_mov_b32_e32 v34, 0
	s_waitcnt lgkmcnt(0)
	s_barrier
	s_and_saveexec_b64 s[0:1], vcc
	s_cbranch_execz .LBB69_83
; %bb.82:
	v_lshl_add_u32 v34, v51, 2, -4
	ds_read_b32 v34, v34
.LBB69_83:
	s_or_b64 exec, exec, s[0:1]
	v_add_u32_e32 v36, -1, v50
	v_and_b32_e32 v37, 64, v50
	v_cmp_lt_i32_e32 vcc, v36, v37
	s_waitcnt lgkmcnt(0)
	v_add_u32_e32 v33, v34, v33
	ds_read_b32 v35, v35 offset:28
	v_cndmask_b32_e32 v36, v36, v50, vcc
	v_lshlrev_b32_e32 v36, 2, v36
	ds_bpermute_b32 v33, v36, v33
	s_waitcnt lgkmcnt(1)
	v_readfirstlane_b32 s33, v35
	s_and_saveexec_b64 s[0:1], s[18:19]
	s_cbranch_execz .LBB69_85
; %bb.84:
	v_mov_b32_e32 v35, 0
	v_mov_b32_e32 v36, s33
	;; [unrolled: 1-line block ×3, first 2 shown]
	global_store_dwordx2 v35, v[36:37], s[34:35] offset:512 sc1
.LBB69_85:
	s_or_b64 exec, exec, s[0:1]
	v_cmp_eq_u32_e32 vcc, 0, v50
	s_mov_b32 s16, 0
	s_waitcnt lgkmcnt(0)
	v_cndmask_b32_e32 v33, v33, v34, vcc
	v_cndmask_b32_e64 v46, v33, 0, s[18:19]
	v_add_u32_e32 v44, v46, v1
	v_add_u32_e32 v42, v44, v43
	;; [unrolled: 1-line block ×6, first 2 shown]
	s_barrier
.LBB69_86:
	s_cmpk_lt_u32 s33, 0x201
	s_cselect_b64 s[2:3], -1, 0
	v_lshrrev_b32_e32 v33, 8, v30
	v_lshrrev_b32_e32 v1, 8, v31
	s_mov_b64 s[0:1], -1
	s_and_b64 vcc, exec, s[2:3]
	s_cbranch_vccz .LBB69_109
; %bb.87:
	s_add_i32 s4, s16, s33
	v_cmp_gt_u32_e32 vcc, s4, v46
	s_or_b64 s[6:7], s[30:31], vcc
	s_and_saveexec_b64 s[0:1], s[6:7]
	s_cbranch_execz .LBB69_90
; %bb.88:
	v_and_b32_e32 v35, 1, v30
	v_cmp_eq_u32_e32 vcc, 1, v35
	s_and_b64 exec, exec, vcc
	s_cbranch_execz .LBB69_90
; %bb.89:
	s_lshl_b64 s[6:7], s[22:23], 3
	s_add_u32 s6, s24, s6
	s_addc_u32 s7, s25, s7
	v_mov_b32_e32 v47, 0
	v_lshl_add_u64 v[48:49], v[46:47], 3, s[6:7]
	global_store_dwordx2 v[48:49], v[22:23], off
.LBB69_90:
	s_or_b64 exec, exec, s[0:1]
	v_cmp_gt_u32_e32 vcc, s4, v44
	s_or_b64 s[6:7], s[30:31], vcc
	s_and_saveexec_b64 s[0:1], s[6:7]
	s_cbranch_execz .LBB69_93
; %bb.91:
	v_and_b32_e32 v35, 1, v33
	v_cmp_eq_u32_e32 vcc, 1, v35
	s_and_b64 exec, exec, vcc
	s_cbranch_execz .LBB69_93
; %bb.92:
	s_lshl_b64 s[6:7], s[22:23], 3
	s_add_u32 s6, s24, s6
	s_addc_u32 s7, s25, s7
	v_mov_b32_e32 v45, 0
	v_lshl_add_u64 v[48:49], v[44:45], 3, s[6:7]
	global_store_dwordx2 v[48:49], v[24:25], off
.LBB69_93:
	s_or_b64 exec, exec, s[0:1]
	v_cmp_gt_u32_e32 vcc, s4, v42
	s_or_b64 s[6:7], s[30:31], vcc
	s_and_saveexec_b64 s[0:1], s[6:7]
	s_cbranch_execz .LBB69_96
; %bb.94:
	v_mov_b32_e32 v35, 1
	v_and_b32_sdwa v35, v35, v30 dst_sel:DWORD dst_unused:UNUSED_PAD src0_sel:DWORD src1_sel:WORD_1
	v_cmp_eq_u32_e32 vcc, 1, v35
	s_and_b64 exec, exec, vcc
	s_cbranch_execz .LBB69_96
; %bb.95:
	s_lshl_b64 s[6:7], s[22:23], 3
	s_add_u32 s6, s24, s6
	s_addc_u32 s7, s25, s7
	v_mov_b32_e32 v43, 0
	v_lshl_add_u64 v[48:49], v[42:43], 3, s[6:7]
	global_store_dwordx2 v[48:49], v[18:19], off
.LBB69_96:
	s_or_b64 exec, exec, s[0:1]
	v_cmp_gt_u32_e32 vcc, s4, v40
	s_or_b64 s[6:7], s[30:31], vcc
	s_and_saveexec_b64 s[0:1], s[6:7]
	s_cbranch_execz .LBB69_99
; %bb.97:
	v_and_b32_e32 v35, 1, v32
	v_cmp_eq_u32_e32 vcc, 1, v35
	s_and_b64 exec, exec, vcc
	s_cbranch_execz .LBB69_99
; %bb.98:
	s_lshl_b64 s[6:7], s[22:23], 3
	s_add_u32 s6, s24, s6
	s_addc_u32 s7, s25, s7
	v_mov_b32_e32 v41, 0
	v_lshl_add_u64 v[48:49], v[40:41], 3, s[6:7]
	global_store_dwordx2 v[48:49], v[20:21], off
.LBB69_99:
	s_or_b64 exec, exec, s[0:1]
	v_cmp_gt_u32_e32 vcc, s4, v38
	s_or_b64 s[6:7], s[30:31], vcc
	s_and_saveexec_b64 s[0:1], s[6:7]
	s_cbranch_execz .LBB69_102
; %bb.100:
	v_and_b32_e32 v35, 1, v31
	v_cmp_eq_u32_e32 vcc, 1, v35
	s_and_b64 exec, exec, vcc
	s_cbranch_execz .LBB69_102
; %bb.101:
	s_lshl_b64 s[6:7], s[22:23], 3
	s_add_u32 s6, s24, s6
	s_addc_u32 s7, s25, s7
	v_mov_b32_e32 v39, 0
	v_lshl_add_u64 v[48:49], v[38:39], 3, s[6:7]
	global_store_dwordx2 v[48:49], v[14:15], off
.LBB69_102:
	s_or_b64 exec, exec, s[0:1]
	v_cmp_gt_u32_e32 vcc, s4, v36
	s_or_b64 s[6:7], s[30:31], vcc
	s_and_saveexec_b64 s[0:1], s[6:7]
	s_cbranch_execz .LBB69_105
; %bb.103:
	v_and_b32_e32 v35, 1, v1
	v_cmp_eq_u32_e32 vcc, 1, v35
	s_and_b64 exec, exec, vcc
	s_cbranch_execz .LBB69_105
; %bb.104:
	s_lshl_b64 s[6:7], s[22:23], 3
	s_add_u32 s6, s24, s6
	s_addc_u32 s7, s25, s7
	v_mov_b32_e32 v37, 0
	v_lshl_add_u64 v[48:49], v[36:37], 3, s[6:7]
	global_store_dwordx2 v[48:49], v[16:17], off
.LBB69_105:
	s_or_b64 exec, exec, s[0:1]
	v_cmp_gt_u32_e32 vcc, s4, v34
	s_or_b64 s[4:5], s[30:31], vcc
	s_and_saveexec_b64 s[0:1], s[4:5]
	s_cbranch_execz .LBB69_108
; %bb.106:
	v_mov_b32_e32 v35, 1
	v_and_b32_sdwa v35, v35, v31 dst_sel:DWORD dst_unused:UNUSED_PAD src0_sel:DWORD src1_sel:WORD_1
	v_cmp_eq_u32_e32 vcc, 1, v35
	s_and_b64 exec, exec, vcc
	s_cbranch_execz .LBB69_108
; %bb.107:
	s_lshl_b64 s[4:5], s[22:23], 3
	s_add_u32 s4, s24, s4
	s_addc_u32 s5, s25, s5
	v_mov_b32_e32 v35, 0
	v_lshl_add_u64 v[48:49], v[34:35], 3, s[4:5]
	global_store_dwordx2 v[48:49], v[28:29], off
.LBB69_108:
	s_or_b64 exec, exec, s[0:1]
	s_mov_b64 s[0:1], 0
.LBB69_109:
	v_and_b32_e32 v48, 1, v30
	s_and_b64 vcc, exec, s[0:1]
	v_cmp_eq_u32_e64 s[0:1], 1, v48
	s_cbranch_vccz .LBB69_128
; %bb.110:
	s_and_saveexec_b64 s[4:5], s[0:1]
	s_cbranch_execz .LBB69_112
; %bb.111:
	v_subrev_u32_e32 v35, s16, v46
	v_lshlrev_b32_e32 v35, 3, v35
	ds_write_b64 v35, v[22:23]
.LBB69_112:
	s_or_b64 exec, exec, s[4:5]
	v_and_b32_e32 v22, 1, v33
	v_cmp_eq_u32_e32 vcc, 1, v22
	s_and_saveexec_b64 s[0:1], vcc
	s_cbranch_execz .LBB69_114
; %bb.113:
	v_subrev_u32_e32 v22, s16, v44
	v_lshlrev_b32_e32 v22, 3, v22
	ds_write_b64 v22, v[24:25]
.LBB69_114:
	s_or_b64 exec, exec, s[0:1]
	v_mov_b32_e32 v22, 1
	v_and_b32_sdwa v22, v22, v30 dst_sel:DWORD dst_unused:UNUSED_PAD src0_sel:DWORD src1_sel:WORD_1
	v_cmp_eq_u32_e32 vcc, 1, v22
	s_and_saveexec_b64 s[0:1], vcc
	s_cbranch_execz .LBB69_116
; %bb.115:
	v_subrev_u32_e32 v22, s16, v42
	v_lshlrev_b32_e32 v22, 3, v22
	ds_write_b64 v22, v[18:19]
.LBB69_116:
	s_or_b64 exec, exec, s[0:1]
	v_and_b32_e32 v18, 1, v32
	v_cmp_eq_u32_e32 vcc, 1, v18
	s_and_saveexec_b64 s[0:1], vcc
	s_cbranch_execz .LBB69_118
; %bb.117:
	v_subrev_u32_e32 v18, s16, v40
	v_lshlrev_b32_e32 v18, 3, v18
	ds_write_b64 v18, v[20:21]
.LBB69_118:
	s_or_b64 exec, exec, s[0:1]
	v_and_b32_e32 v18, 1, v31
	v_cmp_eq_u32_e32 vcc, 1, v18
	s_and_saveexec_b64 s[0:1], vcc
	s_cbranch_execz .LBB69_120
; %bb.119:
	v_subrev_u32_e32 v18, s16, v38
	v_lshlrev_b32_e32 v18, 3, v18
	ds_write_b64 v18, v[14:15]
.LBB69_120:
	s_or_b64 exec, exec, s[0:1]
	v_and_b32_e32 v14, 1, v1
	v_cmp_eq_u32_e32 vcc, 1, v14
	s_and_saveexec_b64 s[0:1], vcc
	s_cbranch_execz .LBB69_122
; %bb.121:
	v_subrev_u32_e32 v14, s16, v36
	v_lshlrev_b32_e32 v14, 3, v14
	ds_write_b64 v14, v[16:17]
.LBB69_122:
	s_or_b64 exec, exec, s[0:1]
	v_mov_b32_e32 v14, 1
	v_and_b32_sdwa v14, v14, v31 dst_sel:DWORD dst_unused:UNUSED_PAD src0_sel:DWORD src1_sel:WORD_1
	v_cmp_eq_u32_e32 vcc, 1, v14
	s_and_saveexec_b64 s[0:1], vcc
	s_cbranch_execz .LBB69_124
; %bb.123:
	v_subrev_u32_e32 v14, s16, v34
	v_lshlrev_b32_e32 v14, 3, v14
	ds_write_b64 v14, v[28:29]
.LBB69_124:
	s_or_b64 exec, exec, s[0:1]
	v_cmp_gt_u32_e32 vcc, s33, v0
	s_waitcnt lgkmcnt(0)
	s_barrier
	s_and_saveexec_b64 s[0:1], vcc
	s_cbranch_execz .LBB69_127
; %bb.125:
	s_mov_b32 s17, 0
	s_lshl_b64 s[4:5], s[22:23], 3
	s_lshl_b64 s[6:7], s[16:17], 3
	s_add_u32 s4, s4, s6
	s_addc_u32 s5, s5, s7
	s_add_u32 s4, s24, s4
	v_lshlrev_b32_e32 v14, 3, v0
	v_mov_b32_e32 v15, 0
	s_addc_u32 s5, s25, s5
	v_lshl_add_u64 v[16:17], s[4:5], 0, v[14:15]
	s_mov_b64 s[4:5], 0
	s_mov_b64 s[6:7], 0x1000
	v_mov_b32_e32 v15, v0
.LBB69_126:                             ; =>This Inner Loop Header: Depth=1
	ds_read_b64 v[18:19], v14
	v_add_u32_e32 v15, 0x200, v15
	v_cmp_le_u32_e32 vcc, s33, v15
	v_add_u32_e32 v14, 0x1000, v14
	s_or_b64 s[4:5], vcc, s[4:5]
	s_waitcnt lgkmcnt(0)
	global_store_dwordx2 v[16:17], v[18:19], off
	v_lshl_add_u64 v[16:17], v[16:17], 0, s[6:7]
	s_andn2_b64 exec, exec, s[4:5]
	s_cbranch_execnz .LBB69_126
.LBB69_127:
	s_or_b64 exec, exec, s[0:1]
.LBB69_128:
	s_mov_b64 s[0:1], -1
	s_and_b64 vcc, exec, s[2:3]
	s_barrier
	s_cbranch_vccnz .LBB69_132
; %bb.129:
	s_and_b64 vcc, exec, s[0:1]
	s_cbranch_vccnz .LBB69_154
.LBB69_130:
	s_and_b64 s[0:1], s[18:19], s[28:29]
	s_and_saveexec_b64 s[2:3], s[0:1]
	s_cbranch_execnz .LBB69_172
.LBB69_131:
	s_endpgm
.LBB69_132:
	s_add_i32 s2, s16, s33
	v_cmp_gt_u32_e32 vcc, s2, v46
	s_or_b64 s[4:5], s[30:31], vcc
	s_and_saveexec_b64 s[0:1], s[4:5]
	s_cbranch_execz .LBB69_135
; %bb.133:
	v_cmp_eq_u32_e32 vcc, 1, v48
	s_and_b64 exec, exec, vcc
	s_cbranch_execz .LBB69_135
; %bb.134:
	s_lshl_b64 s[4:5], s[22:23], 3
	s_add_u32 s4, s26, s4
	s_addc_u32 s5, s27, s5
	v_mov_b32_e32 v47, 0
	v_lshl_add_u64 v[14:15], v[46:47], 3, s[4:5]
	global_store_dwordx2 v[14:15], v[10:11], off
.LBB69_135:
	s_or_b64 exec, exec, s[0:1]
	v_cmp_gt_u32_e32 vcc, s2, v44
	s_or_b64 s[4:5], s[30:31], vcc
	s_and_saveexec_b64 s[0:1], s[4:5]
	s_cbranch_execz .LBB69_138
; %bb.136:
	v_and_b32_e32 v14, 1, v33
	v_cmp_eq_u32_e32 vcc, 1, v14
	s_and_b64 exec, exec, vcc
	s_cbranch_execz .LBB69_138
; %bb.137:
	s_lshl_b64 s[4:5], s[22:23], 3
	s_add_u32 s4, s26, s4
	s_addc_u32 s5, s27, s5
	v_mov_b32_e32 v45, 0
	v_lshl_add_u64 v[14:15], v[44:45], 3, s[4:5]
	global_store_dwordx2 v[14:15], v[12:13], off
.LBB69_138:
	s_or_b64 exec, exec, s[0:1]
	v_cmp_gt_u32_e32 vcc, s2, v42
	s_or_b64 s[4:5], s[30:31], vcc
	s_and_saveexec_b64 s[0:1], s[4:5]
	s_cbranch_execz .LBB69_141
; %bb.139:
	v_mov_b32_e32 v14, 1
	v_and_b32_sdwa v14, v14, v30 dst_sel:DWORD dst_unused:UNUSED_PAD src0_sel:DWORD src1_sel:WORD_1
	v_cmp_eq_u32_e32 vcc, 1, v14
	s_and_b64 exec, exec, vcc
	s_cbranch_execz .LBB69_141
; %bb.140:
	s_lshl_b64 s[4:5], s[22:23], 3
	s_add_u32 s4, s26, s4
	s_addc_u32 s5, s27, s5
	v_mov_b32_e32 v43, 0
	v_lshl_add_u64 v[14:15], v[42:43], 3, s[4:5]
	global_store_dwordx2 v[14:15], v[6:7], off
.LBB69_141:
	s_or_b64 exec, exec, s[0:1]
	v_cmp_gt_u32_e32 vcc, s2, v40
	s_or_b64 s[4:5], s[30:31], vcc
	s_and_saveexec_b64 s[0:1], s[4:5]
	s_cbranch_execz .LBB69_144
; %bb.142:
	v_and_b32_e32 v14, 1, v32
	v_cmp_eq_u32_e32 vcc, 1, v14
	s_and_b64 exec, exec, vcc
	s_cbranch_execz .LBB69_144
; %bb.143:
	s_lshl_b64 s[4:5], s[22:23], 3
	s_add_u32 s4, s26, s4
	s_addc_u32 s5, s27, s5
	v_mov_b32_e32 v41, 0
	v_lshl_add_u64 v[14:15], v[40:41], 3, s[4:5]
	global_store_dwordx2 v[14:15], v[8:9], off
.LBB69_144:
	s_or_b64 exec, exec, s[0:1]
	v_cmp_gt_u32_e32 vcc, s2, v38
	s_or_b64 s[4:5], s[30:31], vcc
	s_and_saveexec_b64 s[0:1], s[4:5]
	s_cbranch_execz .LBB69_147
; %bb.145:
	v_and_b32_e32 v14, 1, v31
	v_cmp_eq_u32_e32 vcc, 1, v14
	s_and_b64 exec, exec, vcc
	s_cbranch_execz .LBB69_147
; %bb.146:
	s_lshl_b64 s[4:5], s[22:23], 3
	s_add_u32 s4, s26, s4
	s_addc_u32 s5, s27, s5
	v_mov_b32_e32 v39, 0
	v_lshl_add_u64 v[14:15], v[38:39], 3, s[4:5]
	global_store_dwordx2 v[14:15], v[2:3], off
.LBB69_147:
	;; [unrolled: 18-line block ×3, first 2 shown]
	s_or_b64 exec, exec, s[0:1]
	v_cmp_gt_u32_e32 vcc, s2, v34
	s_or_b64 s[2:3], s[30:31], vcc
	s_and_saveexec_b64 s[0:1], s[2:3]
	s_cbranch_execz .LBB69_153
; %bb.151:
	v_mov_b32_e32 v14, 1
	v_and_b32_sdwa v14, v14, v31 dst_sel:DWORD dst_unused:UNUSED_PAD src0_sel:DWORD src1_sel:WORD_1
	v_cmp_eq_u32_e32 vcc, 1, v14
	s_and_b64 exec, exec, vcc
	s_cbranch_execz .LBB69_153
; %bb.152:
	s_lshl_b64 s[2:3], s[22:23], 3
	s_add_u32 s2, s26, s2
	s_addc_u32 s3, s27, s3
	v_mov_b32_e32 v35, 0
	v_lshl_add_u64 v[14:15], v[34:35], 3, s[2:3]
	global_store_dwordx2 v[14:15], v[26:27], off
.LBB69_153:
	s_or_b64 exec, exec, s[0:1]
	s_branch .LBB69_130
.LBB69_154:
	v_cmp_eq_u32_e32 vcc, 1, v48
	s_and_saveexec_b64 s[0:1], vcc
	s_cbranch_execz .LBB69_156
; %bb.155:
	v_subrev_u32_e32 v14, s16, v46
	v_lshlrev_b32_e32 v14, 3, v14
	ds_write_b64 v14, v[10:11]
.LBB69_156:
	s_or_b64 exec, exec, s[0:1]
	v_and_b32_e32 v10, 1, v33
	v_cmp_eq_u32_e32 vcc, 1, v10
	s_and_saveexec_b64 s[0:1], vcc
	s_cbranch_execz .LBB69_158
; %bb.157:
	v_subrev_u32_e32 v10, s16, v44
	v_lshlrev_b32_e32 v10, 3, v10
	ds_write_b64 v10, v[12:13]
.LBB69_158:
	s_or_b64 exec, exec, s[0:1]
	v_mov_b32_e32 v10, 1
	v_and_b32_sdwa v10, v10, v30 dst_sel:DWORD dst_unused:UNUSED_PAD src0_sel:DWORD src1_sel:WORD_1
	v_cmp_eq_u32_e32 vcc, 1, v10
	s_and_saveexec_b64 s[0:1], vcc
	s_cbranch_execz .LBB69_160
; %bb.159:
	v_subrev_u32_e32 v10, s16, v42
	v_lshlrev_b32_e32 v10, 3, v10
	ds_write_b64 v10, v[6:7]
.LBB69_160:
	s_or_b64 exec, exec, s[0:1]
	v_and_b32_e32 v6, 1, v32
	v_cmp_eq_u32_e32 vcc, 1, v6
	s_and_saveexec_b64 s[0:1], vcc
	s_cbranch_execz .LBB69_162
; %bb.161:
	v_subrev_u32_e32 v6, s16, v40
	v_lshlrev_b32_e32 v6, 3, v6
	ds_write_b64 v6, v[8:9]
.LBB69_162:
	s_or_b64 exec, exec, s[0:1]
	v_and_b32_e32 v6, 1, v31
	;; [unrolled: 10-line block ×3, first 2 shown]
	v_cmp_eq_u32_e32 vcc, 1, v1
	s_and_saveexec_b64 s[0:1], vcc
	s_cbranch_execz .LBB69_166
; %bb.165:
	v_subrev_u32_e32 v1, s16, v36
	v_lshlrev_b32_e32 v1, 3, v1
	ds_write_b64 v1, v[4:5]
.LBB69_166:
	s_or_b64 exec, exec, s[0:1]
	v_mov_b32_e32 v1, 1
	v_and_b32_sdwa v1, v1, v31 dst_sel:DWORD dst_unused:UNUSED_PAD src0_sel:DWORD src1_sel:WORD_1
	v_cmp_eq_u32_e32 vcc, 1, v1
	s_and_saveexec_b64 s[0:1], vcc
	s_cbranch_execz .LBB69_168
; %bb.167:
	v_subrev_u32_e32 v1, s16, v34
	v_lshlrev_b32_e32 v1, 3, v1
	ds_write_b64 v1, v[26:27]
.LBB69_168:
	s_or_b64 exec, exec, s[0:1]
	v_cmp_gt_u32_e32 vcc, s33, v0
	s_waitcnt lgkmcnt(0)
	s_barrier
	s_and_saveexec_b64 s[0:1], vcc
	s_cbranch_execz .LBB69_171
; %bb.169:
	s_mov_b32 s17, 0
	s_lshl_b64 s[2:3], s[22:23], 3
	s_lshl_b64 s[4:5], s[16:17], 3
	s_add_u32 s2, s2, s4
	s_addc_u32 s3, s3, s5
	s_add_u32 s2, s26, s2
	v_lshlrev_b32_e32 v2, 3, v0
	v_mov_b32_e32 v3, 0
	s_addc_u32 s3, s27, s3
	v_lshl_add_u64 v[4:5], s[2:3], 0, v[2:3]
	s_mov_b64 s[2:3], 0
	s_mov_b64 s[4:5], 0x1000
.LBB69_170:                             ; =>This Inner Loop Header: Depth=1
	ds_read_b64 v[6:7], v2
	v_add_u32_e32 v0, 0x200, v0
	v_cmp_le_u32_e32 vcc, s33, v0
	v_add_u32_e32 v2, 0x1000, v2
	s_or_b64 s[2:3], vcc, s[2:3]
	s_waitcnt lgkmcnt(0)
	global_store_dwordx2 v[4:5], v[6:7], off
	v_lshl_add_u64 v[4:5], v[4:5], 0, s[4:5]
	s_andn2_b64 exec, exec, s[2:3]
	s_cbranch_execnz .LBB69_170
.LBB69_171:
	s_or_b64 exec, exec, s[0:1]
	s_and_b64 s[0:1], s[18:19], s[28:29]
	s_and_saveexec_b64 s[2:3], s[0:1]
	s_cbranch_execz .LBB69_131
.LBB69_172:
	s_add_u32 s0, s22, s33
	s_addc_u32 s1, s23, 0
	s_add_u32 s0, s0, s16
	s_addc_u32 s1, s1, 0
	v_mov_b32_e32 v2, 0
	v_mov_b64_e32 v[0:1], s[0:1]
	global_store_dwordx2 v2, v[0:1], s[20:21]
	s_endpgm
.LBB69_173:
	s_or_b64 exec, exec, s[4:5]
	s_and_saveexec_b64 s[2:3], s[36:37]
	s_cbranch_execnz .LBB69_46
	s_branch .LBB69_47
	.section	.rodata,"a",@progbits
	.p2align	6, 0x0
	.amdhsa_kernel _ZN7rocprim17ROCPRIM_400000_NS6detail17trampoline_kernelINS0_14default_configENS1_25partition_config_selectorILNS1_17partition_subalgoE9EllbEEZZNS1_14partition_implILS5_9ELb0ES3_jPKlN6thrust23THRUST_200600_302600_NS17counting_iteratorIlNSB_11use_defaultESD_SD_EEPNS0_10empty_typeENS0_5tupleIJPlSF_EEENSH_IJSI_SG_EEENS0_18inequality_wrapperIN6hipcub16HIPCUB_304000_NS8EqualityEEESI_JSF_EEE10hipError_tPvRmT3_T4_T5_T6_T7_T9_mT8_P12ihipStream_tbDpT10_ENKUlT_T0_E_clISt17integral_constantIbLb0EES18_IbLb1EEEEDaS14_S15_EUlS14_E_NS1_11comp_targetILNS1_3genE5ELNS1_11target_archE942ELNS1_3gpuE9ELNS1_3repE0EEENS1_30default_config_static_selectorELNS0_4arch9wavefront6targetE1EEEvT1_
		.amdhsa_group_segment_fixed_size 28680
		.amdhsa_private_segment_fixed_size 0
		.amdhsa_kernarg_size 128
		.amdhsa_user_sgpr_count 2
		.amdhsa_user_sgpr_dispatch_ptr 0
		.amdhsa_user_sgpr_queue_ptr 0
		.amdhsa_user_sgpr_kernarg_segment_ptr 1
		.amdhsa_user_sgpr_dispatch_id 0
		.amdhsa_user_sgpr_kernarg_preload_length 0
		.amdhsa_user_sgpr_kernarg_preload_offset 0
		.amdhsa_user_sgpr_private_segment_size 0
		.amdhsa_uses_dynamic_stack 0
		.amdhsa_enable_private_segment 0
		.amdhsa_system_sgpr_workgroup_id_x 1
		.amdhsa_system_sgpr_workgroup_id_y 0
		.amdhsa_system_sgpr_workgroup_id_z 0
		.amdhsa_system_sgpr_workgroup_info 0
		.amdhsa_system_vgpr_workitem_id 0
		.amdhsa_next_free_vgpr 66
		.amdhsa_next_free_sgpr 42
		.amdhsa_accum_offset 68
		.amdhsa_reserve_vcc 1
		.amdhsa_float_round_mode_32 0
		.amdhsa_float_round_mode_16_64 0
		.amdhsa_float_denorm_mode_32 3
		.amdhsa_float_denorm_mode_16_64 3
		.amdhsa_dx10_clamp 1
		.amdhsa_ieee_mode 1
		.amdhsa_fp16_overflow 0
		.amdhsa_tg_split 0
		.amdhsa_exception_fp_ieee_invalid_op 0
		.amdhsa_exception_fp_denorm_src 0
		.amdhsa_exception_fp_ieee_div_zero 0
		.amdhsa_exception_fp_ieee_overflow 0
		.amdhsa_exception_fp_ieee_underflow 0
		.amdhsa_exception_fp_ieee_inexact 0
		.amdhsa_exception_int_div_zero 0
	.end_amdhsa_kernel
	.section	.text._ZN7rocprim17ROCPRIM_400000_NS6detail17trampoline_kernelINS0_14default_configENS1_25partition_config_selectorILNS1_17partition_subalgoE9EllbEEZZNS1_14partition_implILS5_9ELb0ES3_jPKlN6thrust23THRUST_200600_302600_NS17counting_iteratorIlNSB_11use_defaultESD_SD_EEPNS0_10empty_typeENS0_5tupleIJPlSF_EEENSH_IJSI_SG_EEENS0_18inequality_wrapperIN6hipcub16HIPCUB_304000_NS8EqualityEEESI_JSF_EEE10hipError_tPvRmT3_T4_T5_T6_T7_T9_mT8_P12ihipStream_tbDpT10_ENKUlT_T0_E_clISt17integral_constantIbLb0EES18_IbLb1EEEEDaS14_S15_EUlS14_E_NS1_11comp_targetILNS1_3genE5ELNS1_11target_archE942ELNS1_3gpuE9ELNS1_3repE0EEENS1_30default_config_static_selectorELNS0_4arch9wavefront6targetE1EEEvT1_,"axG",@progbits,_ZN7rocprim17ROCPRIM_400000_NS6detail17trampoline_kernelINS0_14default_configENS1_25partition_config_selectorILNS1_17partition_subalgoE9EllbEEZZNS1_14partition_implILS5_9ELb0ES3_jPKlN6thrust23THRUST_200600_302600_NS17counting_iteratorIlNSB_11use_defaultESD_SD_EEPNS0_10empty_typeENS0_5tupleIJPlSF_EEENSH_IJSI_SG_EEENS0_18inequality_wrapperIN6hipcub16HIPCUB_304000_NS8EqualityEEESI_JSF_EEE10hipError_tPvRmT3_T4_T5_T6_T7_T9_mT8_P12ihipStream_tbDpT10_ENKUlT_T0_E_clISt17integral_constantIbLb0EES18_IbLb1EEEEDaS14_S15_EUlS14_E_NS1_11comp_targetILNS1_3genE5ELNS1_11target_archE942ELNS1_3gpuE9ELNS1_3repE0EEENS1_30default_config_static_selectorELNS0_4arch9wavefront6targetE1EEEvT1_,comdat
.Lfunc_end69:
	.size	_ZN7rocprim17ROCPRIM_400000_NS6detail17trampoline_kernelINS0_14default_configENS1_25partition_config_selectorILNS1_17partition_subalgoE9EllbEEZZNS1_14partition_implILS5_9ELb0ES3_jPKlN6thrust23THRUST_200600_302600_NS17counting_iteratorIlNSB_11use_defaultESD_SD_EEPNS0_10empty_typeENS0_5tupleIJPlSF_EEENSH_IJSI_SG_EEENS0_18inequality_wrapperIN6hipcub16HIPCUB_304000_NS8EqualityEEESI_JSF_EEE10hipError_tPvRmT3_T4_T5_T6_T7_T9_mT8_P12ihipStream_tbDpT10_ENKUlT_T0_E_clISt17integral_constantIbLb0EES18_IbLb1EEEEDaS14_S15_EUlS14_E_NS1_11comp_targetILNS1_3genE5ELNS1_11target_archE942ELNS1_3gpuE9ELNS1_3repE0EEENS1_30default_config_static_selectorELNS0_4arch9wavefront6targetE1EEEvT1_, .Lfunc_end69-_ZN7rocprim17ROCPRIM_400000_NS6detail17trampoline_kernelINS0_14default_configENS1_25partition_config_selectorILNS1_17partition_subalgoE9EllbEEZZNS1_14partition_implILS5_9ELb0ES3_jPKlN6thrust23THRUST_200600_302600_NS17counting_iteratorIlNSB_11use_defaultESD_SD_EEPNS0_10empty_typeENS0_5tupleIJPlSF_EEENSH_IJSI_SG_EEENS0_18inequality_wrapperIN6hipcub16HIPCUB_304000_NS8EqualityEEESI_JSF_EEE10hipError_tPvRmT3_T4_T5_T6_T7_T9_mT8_P12ihipStream_tbDpT10_ENKUlT_T0_E_clISt17integral_constantIbLb0EES18_IbLb1EEEEDaS14_S15_EUlS14_E_NS1_11comp_targetILNS1_3genE5ELNS1_11target_archE942ELNS1_3gpuE9ELNS1_3repE0EEENS1_30default_config_static_selectorELNS0_4arch9wavefront6targetE1EEEvT1_
                                        ; -- End function
	.section	.AMDGPU.csdata,"",@progbits
; Kernel info:
; codeLenInByte = 6836
; NumSgprs: 48
; NumVgprs: 66
; NumAgprs: 0
; TotalNumVgprs: 66
; ScratchSize: 0
; MemoryBound: 0
; FloatMode: 240
; IeeeMode: 1
; LDSByteSize: 28680 bytes/workgroup (compile time only)
; SGPRBlocks: 5
; VGPRBlocks: 8
; NumSGPRsForWavesPerEU: 48
; NumVGPRsForWavesPerEU: 66
; AccumOffset: 68
; Occupancy: 4
; WaveLimiterHint : 1
; COMPUTE_PGM_RSRC2:SCRATCH_EN: 0
; COMPUTE_PGM_RSRC2:USER_SGPR: 2
; COMPUTE_PGM_RSRC2:TRAP_HANDLER: 0
; COMPUTE_PGM_RSRC2:TGID_X_EN: 1
; COMPUTE_PGM_RSRC2:TGID_Y_EN: 0
; COMPUTE_PGM_RSRC2:TGID_Z_EN: 0
; COMPUTE_PGM_RSRC2:TIDIG_COMP_CNT: 0
; COMPUTE_PGM_RSRC3_GFX90A:ACCUM_OFFSET: 16
; COMPUTE_PGM_RSRC3_GFX90A:TG_SPLIT: 0
	.section	.text._ZN7rocprim17ROCPRIM_400000_NS6detail17trampoline_kernelINS0_14default_configENS1_25partition_config_selectorILNS1_17partition_subalgoE9EllbEEZZNS1_14partition_implILS5_9ELb0ES3_jPKlN6thrust23THRUST_200600_302600_NS17counting_iteratorIlNSB_11use_defaultESD_SD_EEPNS0_10empty_typeENS0_5tupleIJPlSF_EEENSH_IJSI_SG_EEENS0_18inequality_wrapperIN6hipcub16HIPCUB_304000_NS8EqualityEEESI_JSF_EEE10hipError_tPvRmT3_T4_T5_T6_T7_T9_mT8_P12ihipStream_tbDpT10_ENKUlT_T0_E_clISt17integral_constantIbLb0EES18_IbLb1EEEEDaS14_S15_EUlS14_E_NS1_11comp_targetILNS1_3genE4ELNS1_11target_archE910ELNS1_3gpuE8ELNS1_3repE0EEENS1_30default_config_static_selectorELNS0_4arch9wavefront6targetE1EEEvT1_,"axG",@progbits,_ZN7rocprim17ROCPRIM_400000_NS6detail17trampoline_kernelINS0_14default_configENS1_25partition_config_selectorILNS1_17partition_subalgoE9EllbEEZZNS1_14partition_implILS5_9ELb0ES3_jPKlN6thrust23THRUST_200600_302600_NS17counting_iteratorIlNSB_11use_defaultESD_SD_EEPNS0_10empty_typeENS0_5tupleIJPlSF_EEENSH_IJSI_SG_EEENS0_18inequality_wrapperIN6hipcub16HIPCUB_304000_NS8EqualityEEESI_JSF_EEE10hipError_tPvRmT3_T4_T5_T6_T7_T9_mT8_P12ihipStream_tbDpT10_ENKUlT_T0_E_clISt17integral_constantIbLb0EES18_IbLb1EEEEDaS14_S15_EUlS14_E_NS1_11comp_targetILNS1_3genE4ELNS1_11target_archE910ELNS1_3gpuE8ELNS1_3repE0EEENS1_30default_config_static_selectorELNS0_4arch9wavefront6targetE1EEEvT1_,comdat
	.protected	_ZN7rocprim17ROCPRIM_400000_NS6detail17trampoline_kernelINS0_14default_configENS1_25partition_config_selectorILNS1_17partition_subalgoE9EllbEEZZNS1_14partition_implILS5_9ELb0ES3_jPKlN6thrust23THRUST_200600_302600_NS17counting_iteratorIlNSB_11use_defaultESD_SD_EEPNS0_10empty_typeENS0_5tupleIJPlSF_EEENSH_IJSI_SG_EEENS0_18inequality_wrapperIN6hipcub16HIPCUB_304000_NS8EqualityEEESI_JSF_EEE10hipError_tPvRmT3_T4_T5_T6_T7_T9_mT8_P12ihipStream_tbDpT10_ENKUlT_T0_E_clISt17integral_constantIbLb0EES18_IbLb1EEEEDaS14_S15_EUlS14_E_NS1_11comp_targetILNS1_3genE4ELNS1_11target_archE910ELNS1_3gpuE8ELNS1_3repE0EEENS1_30default_config_static_selectorELNS0_4arch9wavefront6targetE1EEEvT1_ ; -- Begin function _ZN7rocprim17ROCPRIM_400000_NS6detail17trampoline_kernelINS0_14default_configENS1_25partition_config_selectorILNS1_17partition_subalgoE9EllbEEZZNS1_14partition_implILS5_9ELb0ES3_jPKlN6thrust23THRUST_200600_302600_NS17counting_iteratorIlNSB_11use_defaultESD_SD_EEPNS0_10empty_typeENS0_5tupleIJPlSF_EEENSH_IJSI_SG_EEENS0_18inequality_wrapperIN6hipcub16HIPCUB_304000_NS8EqualityEEESI_JSF_EEE10hipError_tPvRmT3_T4_T5_T6_T7_T9_mT8_P12ihipStream_tbDpT10_ENKUlT_T0_E_clISt17integral_constantIbLb0EES18_IbLb1EEEEDaS14_S15_EUlS14_E_NS1_11comp_targetILNS1_3genE4ELNS1_11target_archE910ELNS1_3gpuE8ELNS1_3repE0EEENS1_30default_config_static_selectorELNS0_4arch9wavefront6targetE1EEEvT1_
	.globl	_ZN7rocprim17ROCPRIM_400000_NS6detail17trampoline_kernelINS0_14default_configENS1_25partition_config_selectorILNS1_17partition_subalgoE9EllbEEZZNS1_14partition_implILS5_9ELb0ES3_jPKlN6thrust23THRUST_200600_302600_NS17counting_iteratorIlNSB_11use_defaultESD_SD_EEPNS0_10empty_typeENS0_5tupleIJPlSF_EEENSH_IJSI_SG_EEENS0_18inequality_wrapperIN6hipcub16HIPCUB_304000_NS8EqualityEEESI_JSF_EEE10hipError_tPvRmT3_T4_T5_T6_T7_T9_mT8_P12ihipStream_tbDpT10_ENKUlT_T0_E_clISt17integral_constantIbLb0EES18_IbLb1EEEEDaS14_S15_EUlS14_E_NS1_11comp_targetILNS1_3genE4ELNS1_11target_archE910ELNS1_3gpuE8ELNS1_3repE0EEENS1_30default_config_static_selectorELNS0_4arch9wavefront6targetE1EEEvT1_
	.p2align	8
	.type	_ZN7rocprim17ROCPRIM_400000_NS6detail17trampoline_kernelINS0_14default_configENS1_25partition_config_selectorILNS1_17partition_subalgoE9EllbEEZZNS1_14partition_implILS5_9ELb0ES3_jPKlN6thrust23THRUST_200600_302600_NS17counting_iteratorIlNSB_11use_defaultESD_SD_EEPNS0_10empty_typeENS0_5tupleIJPlSF_EEENSH_IJSI_SG_EEENS0_18inequality_wrapperIN6hipcub16HIPCUB_304000_NS8EqualityEEESI_JSF_EEE10hipError_tPvRmT3_T4_T5_T6_T7_T9_mT8_P12ihipStream_tbDpT10_ENKUlT_T0_E_clISt17integral_constantIbLb0EES18_IbLb1EEEEDaS14_S15_EUlS14_E_NS1_11comp_targetILNS1_3genE4ELNS1_11target_archE910ELNS1_3gpuE8ELNS1_3repE0EEENS1_30default_config_static_selectorELNS0_4arch9wavefront6targetE1EEEvT1_,@function
_ZN7rocprim17ROCPRIM_400000_NS6detail17trampoline_kernelINS0_14default_configENS1_25partition_config_selectorILNS1_17partition_subalgoE9EllbEEZZNS1_14partition_implILS5_9ELb0ES3_jPKlN6thrust23THRUST_200600_302600_NS17counting_iteratorIlNSB_11use_defaultESD_SD_EEPNS0_10empty_typeENS0_5tupleIJPlSF_EEENSH_IJSI_SG_EEENS0_18inequality_wrapperIN6hipcub16HIPCUB_304000_NS8EqualityEEESI_JSF_EEE10hipError_tPvRmT3_T4_T5_T6_T7_T9_mT8_P12ihipStream_tbDpT10_ENKUlT_T0_E_clISt17integral_constantIbLb0EES18_IbLb1EEEEDaS14_S15_EUlS14_E_NS1_11comp_targetILNS1_3genE4ELNS1_11target_archE910ELNS1_3gpuE8ELNS1_3repE0EEENS1_30default_config_static_selectorELNS0_4arch9wavefront6targetE1EEEvT1_: ; @_ZN7rocprim17ROCPRIM_400000_NS6detail17trampoline_kernelINS0_14default_configENS1_25partition_config_selectorILNS1_17partition_subalgoE9EllbEEZZNS1_14partition_implILS5_9ELb0ES3_jPKlN6thrust23THRUST_200600_302600_NS17counting_iteratorIlNSB_11use_defaultESD_SD_EEPNS0_10empty_typeENS0_5tupleIJPlSF_EEENSH_IJSI_SG_EEENS0_18inequality_wrapperIN6hipcub16HIPCUB_304000_NS8EqualityEEESI_JSF_EEE10hipError_tPvRmT3_T4_T5_T6_T7_T9_mT8_P12ihipStream_tbDpT10_ENKUlT_T0_E_clISt17integral_constantIbLb0EES18_IbLb1EEEEDaS14_S15_EUlS14_E_NS1_11comp_targetILNS1_3genE4ELNS1_11target_archE910ELNS1_3gpuE8ELNS1_3repE0EEENS1_30default_config_static_selectorELNS0_4arch9wavefront6targetE1EEEvT1_
; %bb.0:
	.section	.rodata,"a",@progbits
	.p2align	6, 0x0
	.amdhsa_kernel _ZN7rocprim17ROCPRIM_400000_NS6detail17trampoline_kernelINS0_14default_configENS1_25partition_config_selectorILNS1_17partition_subalgoE9EllbEEZZNS1_14partition_implILS5_9ELb0ES3_jPKlN6thrust23THRUST_200600_302600_NS17counting_iteratorIlNSB_11use_defaultESD_SD_EEPNS0_10empty_typeENS0_5tupleIJPlSF_EEENSH_IJSI_SG_EEENS0_18inequality_wrapperIN6hipcub16HIPCUB_304000_NS8EqualityEEESI_JSF_EEE10hipError_tPvRmT3_T4_T5_T6_T7_T9_mT8_P12ihipStream_tbDpT10_ENKUlT_T0_E_clISt17integral_constantIbLb0EES18_IbLb1EEEEDaS14_S15_EUlS14_E_NS1_11comp_targetILNS1_3genE4ELNS1_11target_archE910ELNS1_3gpuE8ELNS1_3repE0EEENS1_30default_config_static_selectorELNS0_4arch9wavefront6targetE1EEEvT1_
		.amdhsa_group_segment_fixed_size 0
		.amdhsa_private_segment_fixed_size 0
		.amdhsa_kernarg_size 128
		.amdhsa_user_sgpr_count 2
		.amdhsa_user_sgpr_dispatch_ptr 0
		.amdhsa_user_sgpr_queue_ptr 0
		.amdhsa_user_sgpr_kernarg_segment_ptr 1
		.amdhsa_user_sgpr_dispatch_id 0
		.amdhsa_user_sgpr_kernarg_preload_length 0
		.amdhsa_user_sgpr_kernarg_preload_offset 0
		.amdhsa_user_sgpr_private_segment_size 0
		.amdhsa_uses_dynamic_stack 0
		.amdhsa_enable_private_segment 0
		.amdhsa_system_sgpr_workgroup_id_x 1
		.amdhsa_system_sgpr_workgroup_id_y 0
		.amdhsa_system_sgpr_workgroup_id_z 0
		.amdhsa_system_sgpr_workgroup_info 0
		.amdhsa_system_vgpr_workitem_id 0
		.amdhsa_next_free_vgpr 1
		.amdhsa_next_free_sgpr 0
		.amdhsa_accum_offset 4
		.amdhsa_reserve_vcc 0
		.amdhsa_float_round_mode_32 0
		.amdhsa_float_round_mode_16_64 0
		.amdhsa_float_denorm_mode_32 3
		.amdhsa_float_denorm_mode_16_64 3
		.amdhsa_dx10_clamp 1
		.amdhsa_ieee_mode 1
		.amdhsa_fp16_overflow 0
		.amdhsa_tg_split 0
		.amdhsa_exception_fp_ieee_invalid_op 0
		.amdhsa_exception_fp_denorm_src 0
		.amdhsa_exception_fp_ieee_div_zero 0
		.amdhsa_exception_fp_ieee_overflow 0
		.amdhsa_exception_fp_ieee_underflow 0
		.amdhsa_exception_fp_ieee_inexact 0
		.amdhsa_exception_int_div_zero 0
	.end_amdhsa_kernel
	.section	.text._ZN7rocprim17ROCPRIM_400000_NS6detail17trampoline_kernelINS0_14default_configENS1_25partition_config_selectorILNS1_17partition_subalgoE9EllbEEZZNS1_14partition_implILS5_9ELb0ES3_jPKlN6thrust23THRUST_200600_302600_NS17counting_iteratorIlNSB_11use_defaultESD_SD_EEPNS0_10empty_typeENS0_5tupleIJPlSF_EEENSH_IJSI_SG_EEENS0_18inequality_wrapperIN6hipcub16HIPCUB_304000_NS8EqualityEEESI_JSF_EEE10hipError_tPvRmT3_T4_T5_T6_T7_T9_mT8_P12ihipStream_tbDpT10_ENKUlT_T0_E_clISt17integral_constantIbLb0EES18_IbLb1EEEEDaS14_S15_EUlS14_E_NS1_11comp_targetILNS1_3genE4ELNS1_11target_archE910ELNS1_3gpuE8ELNS1_3repE0EEENS1_30default_config_static_selectorELNS0_4arch9wavefront6targetE1EEEvT1_,"axG",@progbits,_ZN7rocprim17ROCPRIM_400000_NS6detail17trampoline_kernelINS0_14default_configENS1_25partition_config_selectorILNS1_17partition_subalgoE9EllbEEZZNS1_14partition_implILS5_9ELb0ES3_jPKlN6thrust23THRUST_200600_302600_NS17counting_iteratorIlNSB_11use_defaultESD_SD_EEPNS0_10empty_typeENS0_5tupleIJPlSF_EEENSH_IJSI_SG_EEENS0_18inequality_wrapperIN6hipcub16HIPCUB_304000_NS8EqualityEEESI_JSF_EEE10hipError_tPvRmT3_T4_T5_T6_T7_T9_mT8_P12ihipStream_tbDpT10_ENKUlT_T0_E_clISt17integral_constantIbLb0EES18_IbLb1EEEEDaS14_S15_EUlS14_E_NS1_11comp_targetILNS1_3genE4ELNS1_11target_archE910ELNS1_3gpuE8ELNS1_3repE0EEENS1_30default_config_static_selectorELNS0_4arch9wavefront6targetE1EEEvT1_,comdat
.Lfunc_end70:
	.size	_ZN7rocprim17ROCPRIM_400000_NS6detail17trampoline_kernelINS0_14default_configENS1_25partition_config_selectorILNS1_17partition_subalgoE9EllbEEZZNS1_14partition_implILS5_9ELb0ES3_jPKlN6thrust23THRUST_200600_302600_NS17counting_iteratorIlNSB_11use_defaultESD_SD_EEPNS0_10empty_typeENS0_5tupleIJPlSF_EEENSH_IJSI_SG_EEENS0_18inequality_wrapperIN6hipcub16HIPCUB_304000_NS8EqualityEEESI_JSF_EEE10hipError_tPvRmT3_T4_T5_T6_T7_T9_mT8_P12ihipStream_tbDpT10_ENKUlT_T0_E_clISt17integral_constantIbLb0EES18_IbLb1EEEEDaS14_S15_EUlS14_E_NS1_11comp_targetILNS1_3genE4ELNS1_11target_archE910ELNS1_3gpuE8ELNS1_3repE0EEENS1_30default_config_static_selectorELNS0_4arch9wavefront6targetE1EEEvT1_, .Lfunc_end70-_ZN7rocprim17ROCPRIM_400000_NS6detail17trampoline_kernelINS0_14default_configENS1_25partition_config_selectorILNS1_17partition_subalgoE9EllbEEZZNS1_14partition_implILS5_9ELb0ES3_jPKlN6thrust23THRUST_200600_302600_NS17counting_iteratorIlNSB_11use_defaultESD_SD_EEPNS0_10empty_typeENS0_5tupleIJPlSF_EEENSH_IJSI_SG_EEENS0_18inequality_wrapperIN6hipcub16HIPCUB_304000_NS8EqualityEEESI_JSF_EEE10hipError_tPvRmT3_T4_T5_T6_T7_T9_mT8_P12ihipStream_tbDpT10_ENKUlT_T0_E_clISt17integral_constantIbLb0EES18_IbLb1EEEEDaS14_S15_EUlS14_E_NS1_11comp_targetILNS1_3genE4ELNS1_11target_archE910ELNS1_3gpuE8ELNS1_3repE0EEENS1_30default_config_static_selectorELNS0_4arch9wavefront6targetE1EEEvT1_
                                        ; -- End function
	.section	.AMDGPU.csdata,"",@progbits
; Kernel info:
; codeLenInByte = 0
; NumSgprs: 6
; NumVgprs: 0
; NumAgprs: 0
; TotalNumVgprs: 0
; ScratchSize: 0
; MemoryBound: 0
; FloatMode: 240
; IeeeMode: 1
; LDSByteSize: 0 bytes/workgroup (compile time only)
; SGPRBlocks: 0
; VGPRBlocks: 0
; NumSGPRsForWavesPerEU: 6
; NumVGPRsForWavesPerEU: 1
; AccumOffset: 4
; Occupancy: 8
; WaveLimiterHint : 0
; COMPUTE_PGM_RSRC2:SCRATCH_EN: 0
; COMPUTE_PGM_RSRC2:USER_SGPR: 2
; COMPUTE_PGM_RSRC2:TRAP_HANDLER: 0
; COMPUTE_PGM_RSRC2:TGID_X_EN: 1
; COMPUTE_PGM_RSRC2:TGID_Y_EN: 0
; COMPUTE_PGM_RSRC2:TGID_Z_EN: 0
; COMPUTE_PGM_RSRC2:TIDIG_COMP_CNT: 0
; COMPUTE_PGM_RSRC3_GFX90A:ACCUM_OFFSET: 0
; COMPUTE_PGM_RSRC3_GFX90A:TG_SPLIT: 0
	.section	.text._ZN7rocprim17ROCPRIM_400000_NS6detail17trampoline_kernelINS0_14default_configENS1_25partition_config_selectorILNS1_17partition_subalgoE9EllbEEZZNS1_14partition_implILS5_9ELb0ES3_jPKlN6thrust23THRUST_200600_302600_NS17counting_iteratorIlNSB_11use_defaultESD_SD_EEPNS0_10empty_typeENS0_5tupleIJPlSF_EEENSH_IJSI_SG_EEENS0_18inequality_wrapperIN6hipcub16HIPCUB_304000_NS8EqualityEEESI_JSF_EEE10hipError_tPvRmT3_T4_T5_T6_T7_T9_mT8_P12ihipStream_tbDpT10_ENKUlT_T0_E_clISt17integral_constantIbLb0EES18_IbLb1EEEEDaS14_S15_EUlS14_E_NS1_11comp_targetILNS1_3genE3ELNS1_11target_archE908ELNS1_3gpuE7ELNS1_3repE0EEENS1_30default_config_static_selectorELNS0_4arch9wavefront6targetE1EEEvT1_,"axG",@progbits,_ZN7rocprim17ROCPRIM_400000_NS6detail17trampoline_kernelINS0_14default_configENS1_25partition_config_selectorILNS1_17partition_subalgoE9EllbEEZZNS1_14partition_implILS5_9ELb0ES3_jPKlN6thrust23THRUST_200600_302600_NS17counting_iteratorIlNSB_11use_defaultESD_SD_EEPNS0_10empty_typeENS0_5tupleIJPlSF_EEENSH_IJSI_SG_EEENS0_18inequality_wrapperIN6hipcub16HIPCUB_304000_NS8EqualityEEESI_JSF_EEE10hipError_tPvRmT3_T4_T5_T6_T7_T9_mT8_P12ihipStream_tbDpT10_ENKUlT_T0_E_clISt17integral_constantIbLb0EES18_IbLb1EEEEDaS14_S15_EUlS14_E_NS1_11comp_targetILNS1_3genE3ELNS1_11target_archE908ELNS1_3gpuE7ELNS1_3repE0EEENS1_30default_config_static_selectorELNS0_4arch9wavefront6targetE1EEEvT1_,comdat
	.protected	_ZN7rocprim17ROCPRIM_400000_NS6detail17trampoline_kernelINS0_14default_configENS1_25partition_config_selectorILNS1_17partition_subalgoE9EllbEEZZNS1_14partition_implILS5_9ELb0ES3_jPKlN6thrust23THRUST_200600_302600_NS17counting_iteratorIlNSB_11use_defaultESD_SD_EEPNS0_10empty_typeENS0_5tupleIJPlSF_EEENSH_IJSI_SG_EEENS0_18inequality_wrapperIN6hipcub16HIPCUB_304000_NS8EqualityEEESI_JSF_EEE10hipError_tPvRmT3_T4_T5_T6_T7_T9_mT8_P12ihipStream_tbDpT10_ENKUlT_T0_E_clISt17integral_constantIbLb0EES18_IbLb1EEEEDaS14_S15_EUlS14_E_NS1_11comp_targetILNS1_3genE3ELNS1_11target_archE908ELNS1_3gpuE7ELNS1_3repE0EEENS1_30default_config_static_selectorELNS0_4arch9wavefront6targetE1EEEvT1_ ; -- Begin function _ZN7rocprim17ROCPRIM_400000_NS6detail17trampoline_kernelINS0_14default_configENS1_25partition_config_selectorILNS1_17partition_subalgoE9EllbEEZZNS1_14partition_implILS5_9ELb0ES3_jPKlN6thrust23THRUST_200600_302600_NS17counting_iteratorIlNSB_11use_defaultESD_SD_EEPNS0_10empty_typeENS0_5tupleIJPlSF_EEENSH_IJSI_SG_EEENS0_18inequality_wrapperIN6hipcub16HIPCUB_304000_NS8EqualityEEESI_JSF_EEE10hipError_tPvRmT3_T4_T5_T6_T7_T9_mT8_P12ihipStream_tbDpT10_ENKUlT_T0_E_clISt17integral_constantIbLb0EES18_IbLb1EEEEDaS14_S15_EUlS14_E_NS1_11comp_targetILNS1_3genE3ELNS1_11target_archE908ELNS1_3gpuE7ELNS1_3repE0EEENS1_30default_config_static_selectorELNS0_4arch9wavefront6targetE1EEEvT1_
	.globl	_ZN7rocprim17ROCPRIM_400000_NS6detail17trampoline_kernelINS0_14default_configENS1_25partition_config_selectorILNS1_17partition_subalgoE9EllbEEZZNS1_14partition_implILS5_9ELb0ES3_jPKlN6thrust23THRUST_200600_302600_NS17counting_iteratorIlNSB_11use_defaultESD_SD_EEPNS0_10empty_typeENS0_5tupleIJPlSF_EEENSH_IJSI_SG_EEENS0_18inequality_wrapperIN6hipcub16HIPCUB_304000_NS8EqualityEEESI_JSF_EEE10hipError_tPvRmT3_T4_T5_T6_T7_T9_mT8_P12ihipStream_tbDpT10_ENKUlT_T0_E_clISt17integral_constantIbLb0EES18_IbLb1EEEEDaS14_S15_EUlS14_E_NS1_11comp_targetILNS1_3genE3ELNS1_11target_archE908ELNS1_3gpuE7ELNS1_3repE0EEENS1_30default_config_static_selectorELNS0_4arch9wavefront6targetE1EEEvT1_
	.p2align	8
	.type	_ZN7rocprim17ROCPRIM_400000_NS6detail17trampoline_kernelINS0_14default_configENS1_25partition_config_selectorILNS1_17partition_subalgoE9EllbEEZZNS1_14partition_implILS5_9ELb0ES3_jPKlN6thrust23THRUST_200600_302600_NS17counting_iteratorIlNSB_11use_defaultESD_SD_EEPNS0_10empty_typeENS0_5tupleIJPlSF_EEENSH_IJSI_SG_EEENS0_18inequality_wrapperIN6hipcub16HIPCUB_304000_NS8EqualityEEESI_JSF_EEE10hipError_tPvRmT3_T4_T5_T6_T7_T9_mT8_P12ihipStream_tbDpT10_ENKUlT_T0_E_clISt17integral_constantIbLb0EES18_IbLb1EEEEDaS14_S15_EUlS14_E_NS1_11comp_targetILNS1_3genE3ELNS1_11target_archE908ELNS1_3gpuE7ELNS1_3repE0EEENS1_30default_config_static_selectorELNS0_4arch9wavefront6targetE1EEEvT1_,@function
_ZN7rocprim17ROCPRIM_400000_NS6detail17trampoline_kernelINS0_14default_configENS1_25partition_config_selectorILNS1_17partition_subalgoE9EllbEEZZNS1_14partition_implILS5_9ELb0ES3_jPKlN6thrust23THRUST_200600_302600_NS17counting_iteratorIlNSB_11use_defaultESD_SD_EEPNS0_10empty_typeENS0_5tupleIJPlSF_EEENSH_IJSI_SG_EEENS0_18inequality_wrapperIN6hipcub16HIPCUB_304000_NS8EqualityEEESI_JSF_EEE10hipError_tPvRmT3_T4_T5_T6_T7_T9_mT8_P12ihipStream_tbDpT10_ENKUlT_T0_E_clISt17integral_constantIbLb0EES18_IbLb1EEEEDaS14_S15_EUlS14_E_NS1_11comp_targetILNS1_3genE3ELNS1_11target_archE908ELNS1_3gpuE7ELNS1_3repE0EEENS1_30default_config_static_selectorELNS0_4arch9wavefront6targetE1EEEvT1_: ; @_ZN7rocprim17ROCPRIM_400000_NS6detail17trampoline_kernelINS0_14default_configENS1_25partition_config_selectorILNS1_17partition_subalgoE9EllbEEZZNS1_14partition_implILS5_9ELb0ES3_jPKlN6thrust23THRUST_200600_302600_NS17counting_iteratorIlNSB_11use_defaultESD_SD_EEPNS0_10empty_typeENS0_5tupleIJPlSF_EEENSH_IJSI_SG_EEENS0_18inequality_wrapperIN6hipcub16HIPCUB_304000_NS8EqualityEEESI_JSF_EEE10hipError_tPvRmT3_T4_T5_T6_T7_T9_mT8_P12ihipStream_tbDpT10_ENKUlT_T0_E_clISt17integral_constantIbLb0EES18_IbLb1EEEEDaS14_S15_EUlS14_E_NS1_11comp_targetILNS1_3genE3ELNS1_11target_archE908ELNS1_3gpuE7ELNS1_3repE0EEENS1_30default_config_static_selectorELNS0_4arch9wavefront6targetE1EEEvT1_
; %bb.0:
	.section	.rodata,"a",@progbits
	.p2align	6, 0x0
	.amdhsa_kernel _ZN7rocprim17ROCPRIM_400000_NS6detail17trampoline_kernelINS0_14default_configENS1_25partition_config_selectorILNS1_17partition_subalgoE9EllbEEZZNS1_14partition_implILS5_9ELb0ES3_jPKlN6thrust23THRUST_200600_302600_NS17counting_iteratorIlNSB_11use_defaultESD_SD_EEPNS0_10empty_typeENS0_5tupleIJPlSF_EEENSH_IJSI_SG_EEENS0_18inequality_wrapperIN6hipcub16HIPCUB_304000_NS8EqualityEEESI_JSF_EEE10hipError_tPvRmT3_T4_T5_T6_T7_T9_mT8_P12ihipStream_tbDpT10_ENKUlT_T0_E_clISt17integral_constantIbLb0EES18_IbLb1EEEEDaS14_S15_EUlS14_E_NS1_11comp_targetILNS1_3genE3ELNS1_11target_archE908ELNS1_3gpuE7ELNS1_3repE0EEENS1_30default_config_static_selectorELNS0_4arch9wavefront6targetE1EEEvT1_
		.amdhsa_group_segment_fixed_size 0
		.amdhsa_private_segment_fixed_size 0
		.amdhsa_kernarg_size 128
		.amdhsa_user_sgpr_count 2
		.amdhsa_user_sgpr_dispatch_ptr 0
		.amdhsa_user_sgpr_queue_ptr 0
		.amdhsa_user_sgpr_kernarg_segment_ptr 1
		.amdhsa_user_sgpr_dispatch_id 0
		.amdhsa_user_sgpr_kernarg_preload_length 0
		.amdhsa_user_sgpr_kernarg_preload_offset 0
		.amdhsa_user_sgpr_private_segment_size 0
		.amdhsa_uses_dynamic_stack 0
		.amdhsa_enable_private_segment 0
		.amdhsa_system_sgpr_workgroup_id_x 1
		.amdhsa_system_sgpr_workgroup_id_y 0
		.amdhsa_system_sgpr_workgroup_id_z 0
		.amdhsa_system_sgpr_workgroup_info 0
		.amdhsa_system_vgpr_workitem_id 0
		.amdhsa_next_free_vgpr 1
		.amdhsa_next_free_sgpr 0
		.amdhsa_accum_offset 4
		.amdhsa_reserve_vcc 0
		.amdhsa_float_round_mode_32 0
		.amdhsa_float_round_mode_16_64 0
		.amdhsa_float_denorm_mode_32 3
		.amdhsa_float_denorm_mode_16_64 3
		.amdhsa_dx10_clamp 1
		.amdhsa_ieee_mode 1
		.amdhsa_fp16_overflow 0
		.amdhsa_tg_split 0
		.amdhsa_exception_fp_ieee_invalid_op 0
		.amdhsa_exception_fp_denorm_src 0
		.amdhsa_exception_fp_ieee_div_zero 0
		.amdhsa_exception_fp_ieee_overflow 0
		.amdhsa_exception_fp_ieee_underflow 0
		.amdhsa_exception_fp_ieee_inexact 0
		.amdhsa_exception_int_div_zero 0
	.end_amdhsa_kernel
	.section	.text._ZN7rocprim17ROCPRIM_400000_NS6detail17trampoline_kernelINS0_14default_configENS1_25partition_config_selectorILNS1_17partition_subalgoE9EllbEEZZNS1_14partition_implILS5_9ELb0ES3_jPKlN6thrust23THRUST_200600_302600_NS17counting_iteratorIlNSB_11use_defaultESD_SD_EEPNS0_10empty_typeENS0_5tupleIJPlSF_EEENSH_IJSI_SG_EEENS0_18inequality_wrapperIN6hipcub16HIPCUB_304000_NS8EqualityEEESI_JSF_EEE10hipError_tPvRmT3_T4_T5_T6_T7_T9_mT8_P12ihipStream_tbDpT10_ENKUlT_T0_E_clISt17integral_constantIbLb0EES18_IbLb1EEEEDaS14_S15_EUlS14_E_NS1_11comp_targetILNS1_3genE3ELNS1_11target_archE908ELNS1_3gpuE7ELNS1_3repE0EEENS1_30default_config_static_selectorELNS0_4arch9wavefront6targetE1EEEvT1_,"axG",@progbits,_ZN7rocprim17ROCPRIM_400000_NS6detail17trampoline_kernelINS0_14default_configENS1_25partition_config_selectorILNS1_17partition_subalgoE9EllbEEZZNS1_14partition_implILS5_9ELb0ES3_jPKlN6thrust23THRUST_200600_302600_NS17counting_iteratorIlNSB_11use_defaultESD_SD_EEPNS0_10empty_typeENS0_5tupleIJPlSF_EEENSH_IJSI_SG_EEENS0_18inequality_wrapperIN6hipcub16HIPCUB_304000_NS8EqualityEEESI_JSF_EEE10hipError_tPvRmT3_T4_T5_T6_T7_T9_mT8_P12ihipStream_tbDpT10_ENKUlT_T0_E_clISt17integral_constantIbLb0EES18_IbLb1EEEEDaS14_S15_EUlS14_E_NS1_11comp_targetILNS1_3genE3ELNS1_11target_archE908ELNS1_3gpuE7ELNS1_3repE0EEENS1_30default_config_static_selectorELNS0_4arch9wavefront6targetE1EEEvT1_,comdat
.Lfunc_end71:
	.size	_ZN7rocprim17ROCPRIM_400000_NS6detail17trampoline_kernelINS0_14default_configENS1_25partition_config_selectorILNS1_17partition_subalgoE9EllbEEZZNS1_14partition_implILS5_9ELb0ES3_jPKlN6thrust23THRUST_200600_302600_NS17counting_iteratorIlNSB_11use_defaultESD_SD_EEPNS0_10empty_typeENS0_5tupleIJPlSF_EEENSH_IJSI_SG_EEENS0_18inequality_wrapperIN6hipcub16HIPCUB_304000_NS8EqualityEEESI_JSF_EEE10hipError_tPvRmT3_T4_T5_T6_T7_T9_mT8_P12ihipStream_tbDpT10_ENKUlT_T0_E_clISt17integral_constantIbLb0EES18_IbLb1EEEEDaS14_S15_EUlS14_E_NS1_11comp_targetILNS1_3genE3ELNS1_11target_archE908ELNS1_3gpuE7ELNS1_3repE0EEENS1_30default_config_static_selectorELNS0_4arch9wavefront6targetE1EEEvT1_, .Lfunc_end71-_ZN7rocprim17ROCPRIM_400000_NS6detail17trampoline_kernelINS0_14default_configENS1_25partition_config_selectorILNS1_17partition_subalgoE9EllbEEZZNS1_14partition_implILS5_9ELb0ES3_jPKlN6thrust23THRUST_200600_302600_NS17counting_iteratorIlNSB_11use_defaultESD_SD_EEPNS0_10empty_typeENS0_5tupleIJPlSF_EEENSH_IJSI_SG_EEENS0_18inequality_wrapperIN6hipcub16HIPCUB_304000_NS8EqualityEEESI_JSF_EEE10hipError_tPvRmT3_T4_T5_T6_T7_T9_mT8_P12ihipStream_tbDpT10_ENKUlT_T0_E_clISt17integral_constantIbLb0EES18_IbLb1EEEEDaS14_S15_EUlS14_E_NS1_11comp_targetILNS1_3genE3ELNS1_11target_archE908ELNS1_3gpuE7ELNS1_3repE0EEENS1_30default_config_static_selectorELNS0_4arch9wavefront6targetE1EEEvT1_
                                        ; -- End function
	.section	.AMDGPU.csdata,"",@progbits
; Kernel info:
; codeLenInByte = 0
; NumSgprs: 6
; NumVgprs: 0
; NumAgprs: 0
; TotalNumVgprs: 0
; ScratchSize: 0
; MemoryBound: 0
; FloatMode: 240
; IeeeMode: 1
; LDSByteSize: 0 bytes/workgroup (compile time only)
; SGPRBlocks: 0
; VGPRBlocks: 0
; NumSGPRsForWavesPerEU: 6
; NumVGPRsForWavesPerEU: 1
; AccumOffset: 4
; Occupancy: 8
; WaveLimiterHint : 0
; COMPUTE_PGM_RSRC2:SCRATCH_EN: 0
; COMPUTE_PGM_RSRC2:USER_SGPR: 2
; COMPUTE_PGM_RSRC2:TRAP_HANDLER: 0
; COMPUTE_PGM_RSRC2:TGID_X_EN: 1
; COMPUTE_PGM_RSRC2:TGID_Y_EN: 0
; COMPUTE_PGM_RSRC2:TGID_Z_EN: 0
; COMPUTE_PGM_RSRC2:TIDIG_COMP_CNT: 0
; COMPUTE_PGM_RSRC3_GFX90A:ACCUM_OFFSET: 0
; COMPUTE_PGM_RSRC3_GFX90A:TG_SPLIT: 0
	.section	.text._ZN7rocprim17ROCPRIM_400000_NS6detail17trampoline_kernelINS0_14default_configENS1_25partition_config_selectorILNS1_17partition_subalgoE9EllbEEZZNS1_14partition_implILS5_9ELb0ES3_jPKlN6thrust23THRUST_200600_302600_NS17counting_iteratorIlNSB_11use_defaultESD_SD_EEPNS0_10empty_typeENS0_5tupleIJPlSF_EEENSH_IJSI_SG_EEENS0_18inequality_wrapperIN6hipcub16HIPCUB_304000_NS8EqualityEEESI_JSF_EEE10hipError_tPvRmT3_T4_T5_T6_T7_T9_mT8_P12ihipStream_tbDpT10_ENKUlT_T0_E_clISt17integral_constantIbLb0EES18_IbLb1EEEEDaS14_S15_EUlS14_E_NS1_11comp_targetILNS1_3genE2ELNS1_11target_archE906ELNS1_3gpuE6ELNS1_3repE0EEENS1_30default_config_static_selectorELNS0_4arch9wavefront6targetE1EEEvT1_,"axG",@progbits,_ZN7rocprim17ROCPRIM_400000_NS6detail17trampoline_kernelINS0_14default_configENS1_25partition_config_selectorILNS1_17partition_subalgoE9EllbEEZZNS1_14partition_implILS5_9ELb0ES3_jPKlN6thrust23THRUST_200600_302600_NS17counting_iteratorIlNSB_11use_defaultESD_SD_EEPNS0_10empty_typeENS0_5tupleIJPlSF_EEENSH_IJSI_SG_EEENS0_18inequality_wrapperIN6hipcub16HIPCUB_304000_NS8EqualityEEESI_JSF_EEE10hipError_tPvRmT3_T4_T5_T6_T7_T9_mT8_P12ihipStream_tbDpT10_ENKUlT_T0_E_clISt17integral_constantIbLb0EES18_IbLb1EEEEDaS14_S15_EUlS14_E_NS1_11comp_targetILNS1_3genE2ELNS1_11target_archE906ELNS1_3gpuE6ELNS1_3repE0EEENS1_30default_config_static_selectorELNS0_4arch9wavefront6targetE1EEEvT1_,comdat
	.protected	_ZN7rocprim17ROCPRIM_400000_NS6detail17trampoline_kernelINS0_14default_configENS1_25partition_config_selectorILNS1_17partition_subalgoE9EllbEEZZNS1_14partition_implILS5_9ELb0ES3_jPKlN6thrust23THRUST_200600_302600_NS17counting_iteratorIlNSB_11use_defaultESD_SD_EEPNS0_10empty_typeENS0_5tupleIJPlSF_EEENSH_IJSI_SG_EEENS0_18inequality_wrapperIN6hipcub16HIPCUB_304000_NS8EqualityEEESI_JSF_EEE10hipError_tPvRmT3_T4_T5_T6_T7_T9_mT8_P12ihipStream_tbDpT10_ENKUlT_T0_E_clISt17integral_constantIbLb0EES18_IbLb1EEEEDaS14_S15_EUlS14_E_NS1_11comp_targetILNS1_3genE2ELNS1_11target_archE906ELNS1_3gpuE6ELNS1_3repE0EEENS1_30default_config_static_selectorELNS0_4arch9wavefront6targetE1EEEvT1_ ; -- Begin function _ZN7rocprim17ROCPRIM_400000_NS6detail17trampoline_kernelINS0_14default_configENS1_25partition_config_selectorILNS1_17partition_subalgoE9EllbEEZZNS1_14partition_implILS5_9ELb0ES3_jPKlN6thrust23THRUST_200600_302600_NS17counting_iteratorIlNSB_11use_defaultESD_SD_EEPNS0_10empty_typeENS0_5tupleIJPlSF_EEENSH_IJSI_SG_EEENS0_18inequality_wrapperIN6hipcub16HIPCUB_304000_NS8EqualityEEESI_JSF_EEE10hipError_tPvRmT3_T4_T5_T6_T7_T9_mT8_P12ihipStream_tbDpT10_ENKUlT_T0_E_clISt17integral_constantIbLb0EES18_IbLb1EEEEDaS14_S15_EUlS14_E_NS1_11comp_targetILNS1_3genE2ELNS1_11target_archE906ELNS1_3gpuE6ELNS1_3repE0EEENS1_30default_config_static_selectorELNS0_4arch9wavefront6targetE1EEEvT1_
	.globl	_ZN7rocprim17ROCPRIM_400000_NS6detail17trampoline_kernelINS0_14default_configENS1_25partition_config_selectorILNS1_17partition_subalgoE9EllbEEZZNS1_14partition_implILS5_9ELb0ES3_jPKlN6thrust23THRUST_200600_302600_NS17counting_iteratorIlNSB_11use_defaultESD_SD_EEPNS0_10empty_typeENS0_5tupleIJPlSF_EEENSH_IJSI_SG_EEENS0_18inequality_wrapperIN6hipcub16HIPCUB_304000_NS8EqualityEEESI_JSF_EEE10hipError_tPvRmT3_T4_T5_T6_T7_T9_mT8_P12ihipStream_tbDpT10_ENKUlT_T0_E_clISt17integral_constantIbLb0EES18_IbLb1EEEEDaS14_S15_EUlS14_E_NS1_11comp_targetILNS1_3genE2ELNS1_11target_archE906ELNS1_3gpuE6ELNS1_3repE0EEENS1_30default_config_static_selectorELNS0_4arch9wavefront6targetE1EEEvT1_
	.p2align	8
	.type	_ZN7rocprim17ROCPRIM_400000_NS6detail17trampoline_kernelINS0_14default_configENS1_25partition_config_selectorILNS1_17partition_subalgoE9EllbEEZZNS1_14partition_implILS5_9ELb0ES3_jPKlN6thrust23THRUST_200600_302600_NS17counting_iteratorIlNSB_11use_defaultESD_SD_EEPNS0_10empty_typeENS0_5tupleIJPlSF_EEENSH_IJSI_SG_EEENS0_18inequality_wrapperIN6hipcub16HIPCUB_304000_NS8EqualityEEESI_JSF_EEE10hipError_tPvRmT3_T4_T5_T6_T7_T9_mT8_P12ihipStream_tbDpT10_ENKUlT_T0_E_clISt17integral_constantIbLb0EES18_IbLb1EEEEDaS14_S15_EUlS14_E_NS1_11comp_targetILNS1_3genE2ELNS1_11target_archE906ELNS1_3gpuE6ELNS1_3repE0EEENS1_30default_config_static_selectorELNS0_4arch9wavefront6targetE1EEEvT1_,@function
_ZN7rocprim17ROCPRIM_400000_NS6detail17trampoline_kernelINS0_14default_configENS1_25partition_config_selectorILNS1_17partition_subalgoE9EllbEEZZNS1_14partition_implILS5_9ELb0ES3_jPKlN6thrust23THRUST_200600_302600_NS17counting_iteratorIlNSB_11use_defaultESD_SD_EEPNS0_10empty_typeENS0_5tupleIJPlSF_EEENSH_IJSI_SG_EEENS0_18inequality_wrapperIN6hipcub16HIPCUB_304000_NS8EqualityEEESI_JSF_EEE10hipError_tPvRmT3_T4_T5_T6_T7_T9_mT8_P12ihipStream_tbDpT10_ENKUlT_T0_E_clISt17integral_constantIbLb0EES18_IbLb1EEEEDaS14_S15_EUlS14_E_NS1_11comp_targetILNS1_3genE2ELNS1_11target_archE906ELNS1_3gpuE6ELNS1_3repE0EEENS1_30default_config_static_selectorELNS0_4arch9wavefront6targetE1EEEvT1_: ; @_ZN7rocprim17ROCPRIM_400000_NS6detail17trampoline_kernelINS0_14default_configENS1_25partition_config_selectorILNS1_17partition_subalgoE9EllbEEZZNS1_14partition_implILS5_9ELb0ES3_jPKlN6thrust23THRUST_200600_302600_NS17counting_iteratorIlNSB_11use_defaultESD_SD_EEPNS0_10empty_typeENS0_5tupleIJPlSF_EEENSH_IJSI_SG_EEENS0_18inequality_wrapperIN6hipcub16HIPCUB_304000_NS8EqualityEEESI_JSF_EEE10hipError_tPvRmT3_T4_T5_T6_T7_T9_mT8_P12ihipStream_tbDpT10_ENKUlT_T0_E_clISt17integral_constantIbLb0EES18_IbLb1EEEEDaS14_S15_EUlS14_E_NS1_11comp_targetILNS1_3genE2ELNS1_11target_archE906ELNS1_3gpuE6ELNS1_3repE0EEENS1_30default_config_static_selectorELNS0_4arch9wavefront6targetE1EEEvT1_
; %bb.0:
	.section	.rodata,"a",@progbits
	.p2align	6, 0x0
	.amdhsa_kernel _ZN7rocprim17ROCPRIM_400000_NS6detail17trampoline_kernelINS0_14default_configENS1_25partition_config_selectorILNS1_17partition_subalgoE9EllbEEZZNS1_14partition_implILS5_9ELb0ES3_jPKlN6thrust23THRUST_200600_302600_NS17counting_iteratorIlNSB_11use_defaultESD_SD_EEPNS0_10empty_typeENS0_5tupleIJPlSF_EEENSH_IJSI_SG_EEENS0_18inequality_wrapperIN6hipcub16HIPCUB_304000_NS8EqualityEEESI_JSF_EEE10hipError_tPvRmT3_T4_T5_T6_T7_T9_mT8_P12ihipStream_tbDpT10_ENKUlT_T0_E_clISt17integral_constantIbLb0EES18_IbLb1EEEEDaS14_S15_EUlS14_E_NS1_11comp_targetILNS1_3genE2ELNS1_11target_archE906ELNS1_3gpuE6ELNS1_3repE0EEENS1_30default_config_static_selectorELNS0_4arch9wavefront6targetE1EEEvT1_
		.amdhsa_group_segment_fixed_size 0
		.amdhsa_private_segment_fixed_size 0
		.amdhsa_kernarg_size 128
		.amdhsa_user_sgpr_count 2
		.amdhsa_user_sgpr_dispatch_ptr 0
		.amdhsa_user_sgpr_queue_ptr 0
		.amdhsa_user_sgpr_kernarg_segment_ptr 1
		.amdhsa_user_sgpr_dispatch_id 0
		.amdhsa_user_sgpr_kernarg_preload_length 0
		.amdhsa_user_sgpr_kernarg_preload_offset 0
		.amdhsa_user_sgpr_private_segment_size 0
		.amdhsa_uses_dynamic_stack 0
		.amdhsa_enable_private_segment 0
		.amdhsa_system_sgpr_workgroup_id_x 1
		.amdhsa_system_sgpr_workgroup_id_y 0
		.amdhsa_system_sgpr_workgroup_id_z 0
		.amdhsa_system_sgpr_workgroup_info 0
		.amdhsa_system_vgpr_workitem_id 0
		.amdhsa_next_free_vgpr 1
		.amdhsa_next_free_sgpr 0
		.amdhsa_accum_offset 4
		.amdhsa_reserve_vcc 0
		.amdhsa_float_round_mode_32 0
		.amdhsa_float_round_mode_16_64 0
		.amdhsa_float_denorm_mode_32 3
		.amdhsa_float_denorm_mode_16_64 3
		.amdhsa_dx10_clamp 1
		.amdhsa_ieee_mode 1
		.amdhsa_fp16_overflow 0
		.amdhsa_tg_split 0
		.amdhsa_exception_fp_ieee_invalid_op 0
		.amdhsa_exception_fp_denorm_src 0
		.amdhsa_exception_fp_ieee_div_zero 0
		.amdhsa_exception_fp_ieee_overflow 0
		.amdhsa_exception_fp_ieee_underflow 0
		.amdhsa_exception_fp_ieee_inexact 0
		.amdhsa_exception_int_div_zero 0
	.end_amdhsa_kernel
	.section	.text._ZN7rocprim17ROCPRIM_400000_NS6detail17trampoline_kernelINS0_14default_configENS1_25partition_config_selectorILNS1_17partition_subalgoE9EllbEEZZNS1_14partition_implILS5_9ELb0ES3_jPKlN6thrust23THRUST_200600_302600_NS17counting_iteratorIlNSB_11use_defaultESD_SD_EEPNS0_10empty_typeENS0_5tupleIJPlSF_EEENSH_IJSI_SG_EEENS0_18inequality_wrapperIN6hipcub16HIPCUB_304000_NS8EqualityEEESI_JSF_EEE10hipError_tPvRmT3_T4_T5_T6_T7_T9_mT8_P12ihipStream_tbDpT10_ENKUlT_T0_E_clISt17integral_constantIbLb0EES18_IbLb1EEEEDaS14_S15_EUlS14_E_NS1_11comp_targetILNS1_3genE2ELNS1_11target_archE906ELNS1_3gpuE6ELNS1_3repE0EEENS1_30default_config_static_selectorELNS0_4arch9wavefront6targetE1EEEvT1_,"axG",@progbits,_ZN7rocprim17ROCPRIM_400000_NS6detail17trampoline_kernelINS0_14default_configENS1_25partition_config_selectorILNS1_17partition_subalgoE9EllbEEZZNS1_14partition_implILS5_9ELb0ES3_jPKlN6thrust23THRUST_200600_302600_NS17counting_iteratorIlNSB_11use_defaultESD_SD_EEPNS0_10empty_typeENS0_5tupleIJPlSF_EEENSH_IJSI_SG_EEENS0_18inequality_wrapperIN6hipcub16HIPCUB_304000_NS8EqualityEEESI_JSF_EEE10hipError_tPvRmT3_T4_T5_T6_T7_T9_mT8_P12ihipStream_tbDpT10_ENKUlT_T0_E_clISt17integral_constantIbLb0EES18_IbLb1EEEEDaS14_S15_EUlS14_E_NS1_11comp_targetILNS1_3genE2ELNS1_11target_archE906ELNS1_3gpuE6ELNS1_3repE0EEENS1_30default_config_static_selectorELNS0_4arch9wavefront6targetE1EEEvT1_,comdat
.Lfunc_end72:
	.size	_ZN7rocprim17ROCPRIM_400000_NS6detail17trampoline_kernelINS0_14default_configENS1_25partition_config_selectorILNS1_17partition_subalgoE9EllbEEZZNS1_14partition_implILS5_9ELb0ES3_jPKlN6thrust23THRUST_200600_302600_NS17counting_iteratorIlNSB_11use_defaultESD_SD_EEPNS0_10empty_typeENS0_5tupleIJPlSF_EEENSH_IJSI_SG_EEENS0_18inequality_wrapperIN6hipcub16HIPCUB_304000_NS8EqualityEEESI_JSF_EEE10hipError_tPvRmT3_T4_T5_T6_T7_T9_mT8_P12ihipStream_tbDpT10_ENKUlT_T0_E_clISt17integral_constantIbLb0EES18_IbLb1EEEEDaS14_S15_EUlS14_E_NS1_11comp_targetILNS1_3genE2ELNS1_11target_archE906ELNS1_3gpuE6ELNS1_3repE0EEENS1_30default_config_static_selectorELNS0_4arch9wavefront6targetE1EEEvT1_, .Lfunc_end72-_ZN7rocprim17ROCPRIM_400000_NS6detail17trampoline_kernelINS0_14default_configENS1_25partition_config_selectorILNS1_17partition_subalgoE9EllbEEZZNS1_14partition_implILS5_9ELb0ES3_jPKlN6thrust23THRUST_200600_302600_NS17counting_iteratorIlNSB_11use_defaultESD_SD_EEPNS0_10empty_typeENS0_5tupleIJPlSF_EEENSH_IJSI_SG_EEENS0_18inequality_wrapperIN6hipcub16HIPCUB_304000_NS8EqualityEEESI_JSF_EEE10hipError_tPvRmT3_T4_T5_T6_T7_T9_mT8_P12ihipStream_tbDpT10_ENKUlT_T0_E_clISt17integral_constantIbLb0EES18_IbLb1EEEEDaS14_S15_EUlS14_E_NS1_11comp_targetILNS1_3genE2ELNS1_11target_archE906ELNS1_3gpuE6ELNS1_3repE0EEENS1_30default_config_static_selectorELNS0_4arch9wavefront6targetE1EEEvT1_
                                        ; -- End function
	.section	.AMDGPU.csdata,"",@progbits
; Kernel info:
; codeLenInByte = 0
; NumSgprs: 6
; NumVgprs: 0
; NumAgprs: 0
; TotalNumVgprs: 0
; ScratchSize: 0
; MemoryBound: 0
; FloatMode: 240
; IeeeMode: 1
; LDSByteSize: 0 bytes/workgroup (compile time only)
; SGPRBlocks: 0
; VGPRBlocks: 0
; NumSGPRsForWavesPerEU: 6
; NumVGPRsForWavesPerEU: 1
; AccumOffset: 4
; Occupancy: 8
; WaveLimiterHint : 0
; COMPUTE_PGM_RSRC2:SCRATCH_EN: 0
; COMPUTE_PGM_RSRC2:USER_SGPR: 2
; COMPUTE_PGM_RSRC2:TRAP_HANDLER: 0
; COMPUTE_PGM_RSRC2:TGID_X_EN: 1
; COMPUTE_PGM_RSRC2:TGID_Y_EN: 0
; COMPUTE_PGM_RSRC2:TGID_Z_EN: 0
; COMPUTE_PGM_RSRC2:TIDIG_COMP_CNT: 0
; COMPUTE_PGM_RSRC3_GFX90A:ACCUM_OFFSET: 0
; COMPUTE_PGM_RSRC3_GFX90A:TG_SPLIT: 0
	.section	.text._ZN7rocprim17ROCPRIM_400000_NS6detail17trampoline_kernelINS0_14default_configENS1_25partition_config_selectorILNS1_17partition_subalgoE9EllbEEZZNS1_14partition_implILS5_9ELb0ES3_jPKlN6thrust23THRUST_200600_302600_NS17counting_iteratorIlNSB_11use_defaultESD_SD_EEPNS0_10empty_typeENS0_5tupleIJPlSF_EEENSH_IJSI_SG_EEENS0_18inequality_wrapperIN6hipcub16HIPCUB_304000_NS8EqualityEEESI_JSF_EEE10hipError_tPvRmT3_T4_T5_T6_T7_T9_mT8_P12ihipStream_tbDpT10_ENKUlT_T0_E_clISt17integral_constantIbLb0EES18_IbLb1EEEEDaS14_S15_EUlS14_E_NS1_11comp_targetILNS1_3genE10ELNS1_11target_archE1200ELNS1_3gpuE4ELNS1_3repE0EEENS1_30default_config_static_selectorELNS0_4arch9wavefront6targetE1EEEvT1_,"axG",@progbits,_ZN7rocprim17ROCPRIM_400000_NS6detail17trampoline_kernelINS0_14default_configENS1_25partition_config_selectorILNS1_17partition_subalgoE9EllbEEZZNS1_14partition_implILS5_9ELb0ES3_jPKlN6thrust23THRUST_200600_302600_NS17counting_iteratorIlNSB_11use_defaultESD_SD_EEPNS0_10empty_typeENS0_5tupleIJPlSF_EEENSH_IJSI_SG_EEENS0_18inequality_wrapperIN6hipcub16HIPCUB_304000_NS8EqualityEEESI_JSF_EEE10hipError_tPvRmT3_T4_T5_T6_T7_T9_mT8_P12ihipStream_tbDpT10_ENKUlT_T0_E_clISt17integral_constantIbLb0EES18_IbLb1EEEEDaS14_S15_EUlS14_E_NS1_11comp_targetILNS1_3genE10ELNS1_11target_archE1200ELNS1_3gpuE4ELNS1_3repE0EEENS1_30default_config_static_selectorELNS0_4arch9wavefront6targetE1EEEvT1_,comdat
	.protected	_ZN7rocprim17ROCPRIM_400000_NS6detail17trampoline_kernelINS0_14default_configENS1_25partition_config_selectorILNS1_17partition_subalgoE9EllbEEZZNS1_14partition_implILS5_9ELb0ES3_jPKlN6thrust23THRUST_200600_302600_NS17counting_iteratorIlNSB_11use_defaultESD_SD_EEPNS0_10empty_typeENS0_5tupleIJPlSF_EEENSH_IJSI_SG_EEENS0_18inequality_wrapperIN6hipcub16HIPCUB_304000_NS8EqualityEEESI_JSF_EEE10hipError_tPvRmT3_T4_T5_T6_T7_T9_mT8_P12ihipStream_tbDpT10_ENKUlT_T0_E_clISt17integral_constantIbLb0EES18_IbLb1EEEEDaS14_S15_EUlS14_E_NS1_11comp_targetILNS1_3genE10ELNS1_11target_archE1200ELNS1_3gpuE4ELNS1_3repE0EEENS1_30default_config_static_selectorELNS0_4arch9wavefront6targetE1EEEvT1_ ; -- Begin function _ZN7rocprim17ROCPRIM_400000_NS6detail17trampoline_kernelINS0_14default_configENS1_25partition_config_selectorILNS1_17partition_subalgoE9EllbEEZZNS1_14partition_implILS5_9ELb0ES3_jPKlN6thrust23THRUST_200600_302600_NS17counting_iteratorIlNSB_11use_defaultESD_SD_EEPNS0_10empty_typeENS0_5tupleIJPlSF_EEENSH_IJSI_SG_EEENS0_18inequality_wrapperIN6hipcub16HIPCUB_304000_NS8EqualityEEESI_JSF_EEE10hipError_tPvRmT3_T4_T5_T6_T7_T9_mT8_P12ihipStream_tbDpT10_ENKUlT_T0_E_clISt17integral_constantIbLb0EES18_IbLb1EEEEDaS14_S15_EUlS14_E_NS1_11comp_targetILNS1_3genE10ELNS1_11target_archE1200ELNS1_3gpuE4ELNS1_3repE0EEENS1_30default_config_static_selectorELNS0_4arch9wavefront6targetE1EEEvT1_
	.globl	_ZN7rocprim17ROCPRIM_400000_NS6detail17trampoline_kernelINS0_14default_configENS1_25partition_config_selectorILNS1_17partition_subalgoE9EllbEEZZNS1_14partition_implILS5_9ELb0ES3_jPKlN6thrust23THRUST_200600_302600_NS17counting_iteratorIlNSB_11use_defaultESD_SD_EEPNS0_10empty_typeENS0_5tupleIJPlSF_EEENSH_IJSI_SG_EEENS0_18inequality_wrapperIN6hipcub16HIPCUB_304000_NS8EqualityEEESI_JSF_EEE10hipError_tPvRmT3_T4_T5_T6_T7_T9_mT8_P12ihipStream_tbDpT10_ENKUlT_T0_E_clISt17integral_constantIbLb0EES18_IbLb1EEEEDaS14_S15_EUlS14_E_NS1_11comp_targetILNS1_3genE10ELNS1_11target_archE1200ELNS1_3gpuE4ELNS1_3repE0EEENS1_30default_config_static_selectorELNS0_4arch9wavefront6targetE1EEEvT1_
	.p2align	8
	.type	_ZN7rocprim17ROCPRIM_400000_NS6detail17trampoline_kernelINS0_14default_configENS1_25partition_config_selectorILNS1_17partition_subalgoE9EllbEEZZNS1_14partition_implILS5_9ELb0ES3_jPKlN6thrust23THRUST_200600_302600_NS17counting_iteratorIlNSB_11use_defaultESD_SD_EEPNS0_10empty_typeENS0_5tupleIJPlSF_EEENSH_IJSI_SG_EEENS0_18inequality_wrapperIN6hipcub16HIPCUB_304000_NS8EqualityEEESI_JSF_EEE10hipError_tPvRmT3_T4_T5_T6_T7_T9_mT8_P12ihipStream_tbDpT10_ENKUlT_T0_E_clISt17integral_constantIbLb0EES18_IbLb1EEEEDaS14_S15_EUlS14_E_NS1_11comp_targetILNS1_3genE10ELNS1_11target_archE1200ELNS1_3gpuE4ELNS1_3repE0EEENS1_30default_config_static_selectorELNS0_4arch9wavefront6targetE1EEEvT1_,@function
_ZN7rocprim17ROCPRIM_400000_NS6detail17trampoline_kernelINS0_14default_configENS1_25partition_config_selectorILNS1_17partition_subalgoE9EllbEEZZNS1_14partition_implILS5_9ELb0ES3_jPKlN6thrust23THRUST_200600_302600_NS17counting_iteratorIlNSB_11use_defaultESD_SD_EEPNS0_10empty_typeENS0_5tupleIJPlSF_EEENSH_IJSI_SG_EEENS0_18inequality_wrapperIN6hipcub16HIPCUB_304000_NS8EqualityEEESI_JSF_EEE10hipError_tPvRmT3_T4_T5_T6_T7_T9_mT8_P12ihipStream_tbDpT10_ENKUlT_T0_E_clISt17integral_constantIbLb0EES18_IbLb1EEEEDaS14_S15_EUlS14_E_NS1_11comp_targetILNS1_3genE10ELNS1_11target_archE1200ELNS1_3gpuE4ELNS1_3repE0EEENS1_30default_config_static_selectorELNS0_4arch9wavefront6targetE1EEEvT1_: ; @_ZN7rocprim17ROCPRIM_400000_NS6detail17trampoline_kernelINS0_14default_configENS1_25partition_config_selectorILNS1_17partition_subalgoE9EllbEEZZNS1_14partition_implILS5_9ELb0ES3_jPKlN6thrust23THRUST_200600_302600_NS17counting_iteratorIlNSB_11use_defaultESD_SD_EEPNS0_10empty_typeENS0_5tupleIJPlSF_EEENSH_IJSI_SG_EEENS0_18inequality_wrapperIN6hipcub16HIPCUB_304000_NS8EqualityEEESI_JSF_EEE10hipError_tPvRmT3_T4_T5_T6_T7_T9_mT8_P12ihipStream_tbDpT10_ENKUlT_T0_E_clISt17integral_constantIbLb0EES18_IbLb1EEEEDaS14_S15_EUlS14_E_NS1_11comp_targetILNS1_3genE10ELNS1_11target_archE1200ELNS1_3gpuE4ELNS1_3repE0EEENS1_30default_config_static_selectorELNS0_4arch9wavefront6targetE1EEEvT1_
; %bb.0:
	.section	.rodata,"a",@progbits
	.p2align	6, 0x0
	.amdhsa_kernel _ZN7rocprim17ROCPRIM_400000_NS6detail17trampoline_kernelINS0_14default_configENS1_25partition_config_selectorILNS1_17partition_subalgoE9EllbEEZZNS1_14partition_implILS5_9ELb0ES3_jPKlN6thrust23THRUST_200600_302600_NS17counting_iteratorIlNSB_11use_defaultESD_SD_EEPNS0_10empty_typeENS0_5tupleIJPlSF_EEENSH_IJSI_SG_EEENS0_18inequality_wrapperIN6hipcub16HIPCUB_304000_NS8EqualityEEESI_JSF_EEE10hipError_tPvRmT3_T4_T5_T6_T7_T9_mT8_P12ihipStream_tbDpT10_ENKUlT_T0_E_clISt17integral_constantIbLb0EES18_IbLb1EEEEDaS14_S15_EUlS14_E_NS1_11comp_targetILNS1_3genE10ELNS1_11target_archE1200ELNS1_3gpuE4ELNS1_3repE0EEENS1_30default_config_static_selectorELNS0_4arch9wavefront6targetE1EEEvT1_
		.amdhsa_group_segment_fixed_size 0
		.amdhsa_private_segment_fixed_size 0
		.amdhsa_kernarg_size 128
		.amdhsa_user_sgpr_count 2
		.amdhsa_user_sgpr_dispatch_ptr 0
		.amdhsa_user_sgpr_queue_ptr 0
		.amdhsa_user_sgpr_kernarg_segment_ptr 1
		.amdhsa_user_sgpr_dispatch_id 0
		.amdhsa_user_sgpr_kernarg_preload_length 0
		.amdhsa_user_sgpr_kernarg_preload_offset 0
		.amdhsa_user_sgpr_private_segment_size 0
		.amdhsa_uses_dynamic_stack 0
		.amdhsa_enable_private_segment 0
		.amdhsa_system_sgpr_workgroup_id_x 1
		.amdhsa_system_sgpr_workgroup_id_y 0
		.amdhsa_system_sgpr_workgroup_id_z 0
		.amdhsa_system_sgpr_workgroup_info 0
		.amdhsa_system_vgpr_workitem_id 0
		.amdhsa_next_free_vgpr 1
		.amdhsa_next_free_sgpr 0
		.amdhsa_accum_offset 4
		.amdhsa_reserve_vcc 0
		.amdhsa_float_round_mode_32 0
		.amdhsa_float_round_mode_16_64 0
		.amdhsa_float_denorm_mode_32 3
		.amdhsa_float_denorm_mode_16_64 3
		.amdhsa_dx10_clamp 1
		.amdhsa_ieee_mode 1
		.amdhsa_fp16_overflow 0
		.amdhsa_tg_split 0
		.amdhsa_exception_fp_ieee_invalid_op 0
		.amdhsa_exception_fp_denorm_src 0
		.amdhsa_exception_fp_ieee_div_zero 0
		.amdhsa_exception_fp_ieee_overflow 0
		.amdhsa_exception_fp_ieee_underflow 0
		.amdhsa_exception_fp_ieee_inexact 0
		.amdhsa_exception_int_div_zero 0
	.end_amdhsa_kernel
	.section	.text._ZN7rocprim17ROCPRIM_400000_NS6detail17trampoline_kernelINS0_14default_configENS1_25partition_config_selectorILNS1_17partition_subalgoE9EllbEEZZNS1_14partition_implILS5_9ELb0ES3_jPKlN6thrust23THRUST_200600_302600_NS17counting_iteratorIlNSB_11use_defaultESD_SD_EEPNS0_10empty_typeENS0_5tupleIJPlSF_EEENSH_IJSI_SG_EEENS0_18inequality_wrapperIN6hipcub16HIPCUB_304000_NS8EqualityEEESI_JSF_EEE10hipError_tPvRmT3_T4_T5_T6_T7_T9_mT8_P12ihipStream_tbDpT10_ENKUlT_T0_E_clISt17integral_constantIbLb0EES18_IbLb1EEEEDaS14_S15_EUlS14_E_NS1_11comp_targetILNS1_3genE10ELNS1_11target_archE1200ELNS1_3gpuE4ELNS1_3repE0EEENS1_30default_config_static_selectorELNS0_4arch9wavefront6targetE1EEEvT1_,"axG",@progbits,_ZN7rocprim17ROCPRIM_400000_NS6detail17trampoline_kernelINS0_14default_configENS1_25partition_config_selectorILNS1_17partition_subalgoE9EllbEEZZNS1_14partition_implILS5_9ELb0ES3_jPKlN6thrust23THRUST_200600_302600_NS17counting_iteratorIlNSB_11use_defaultESD_SD_EEPNS0_10empty_typeENS0_5tupleIJPlSF_EEENSH_IJSI_SG_EEENS0_18inequality_wrapperIN6hipcub16HIPCUB_304000_NS8EqualityEEESI_JSF_EEE10hipError_tPvRmT3_T4_T5_T6_T7_T9_mT8_P12ihipStream_tbDpT10_ENKUlT_T0_E_clISt17integral_constantIbLb0EES18_IbLb1EEEEDaS14_S15_EUlS14_E_NS1_11comp_targetILNS1_3genE10ELNS1_11target_archE1200ELNS1_3gpuE4ELNS1_3repE0EEENS1_30default_config_static_selectorELNS0_4arch9wavefront6targetE1EEEvT1_,comdat
.Lfunc_end73:
	.size	_ZN7rocprim17ROCPRIM_400000_NS6detail17trampoline_kernelINS0_14default_configENS1_25partition_config_selectorILNS1_17partition_subalgoE9EllbEEZZNS1_14partition_implILS5_9ELb0ES3_jPKlN6thrust23THRUST_200600_302600_NS17counting_iteratorIlNSB_11use_defaultESD_SD_EEPNS0_10empty_typeENS0_5tupleIJPlSF_EEENSH_IJSI_SG_EEENS0_18inequality_wrapperIN6hipcub16HIPCUB_304000_NS8EqualityEEESI_JSF_EEE10hipError_tPvRmT3_T4_T5_T6_T7_T9_mT8_P12ihipStream_tbDpT10_ENKUlT_T0_E_clISt17integral_constantIbLb0EES18_IbLb1EEEEDaS14_S15_EUlS14_E_NS1_11comp_targetILNS1_3genE10ELNS1_11target_archE1200ELNS1_3gpuE4ELNS1_3repE0EEENS1_30default_config_static_selectorELNS0_4arch9wavefront6targetE1EEEvT1_, .Lfunc_end73-_ZN7rocprim17ROCPRIM_400000_NS6detail17trampoline_kernelINS0_14default_configENS1_25partition_config_selectorILNS1_17partition_subalgoE9EllbEEZZNS1_14partition_implILS5_9ELb0ES3_jPKlN6thrust23THRUST_200600_302600_NS17counting_iteratorIlNSB_11use_defaultESD_SD_EEPNS0_10empty_typeENS0_5tupleIJPlSF_EEENSH_IJSI_SG_EEENS0_18inequality_wrapperIN6hipcub16HIPCUB_304000_NS8EqualityEEESI_JSF_EEE10hipError_tPvRmT3_T4_T5_T6_T7_T9_mT8_P12ihipStream_tbDpT10_ENKUlT_T0_E_clISt17integral_constantIbLb0EES18_IbLb1EEEEDaS14_S15_EUlS14_E_NS1_11comp_targetILNS1_3genE10ELNS1_11target_archE1200ELNS1_3gpuE4ELNS1_3repE0EEENS1_30default_config_static_selectorELNS0_4arch9wavefront6targetE1EEEvT1_
                                        ; -- End function
	.section	.AMDGPU.csdata,"",@progbits
; Kernel info:
; codeLenInByte = 0
; NumSgprs: 6
; NumVgprs: 0
; NumAgprs: 0
; TotalNumVgprs: 0
; ScratchSize: 0
; MemoryBound: 0
; FloatMode: 240
; IeeeMode: 1
; LDSByteSize: 0 bytes/workgroup (compile time only)
; SGPRBlocks: 0
; VGPRBlocks: 0
; NumSGPRsForWavesPerEU: 6
; NumVGPRsForWavesPerEU: 1
; AccumOffset: 4
; Occupancy: 8
; WaveLimiterHint : 0
; COMPUTE_PGM_RSRC2:SCRATCH_EN: 0
; COMPUTE_PGM_RSRC2:USER_SGPR: 2
; COMPUTE_PGM_RSRC2:TRAP_HANDLER: 0
; COMPUTE_PGM_RSRC2:TGID_X_EN: 1
; COMPUTE_PGM_RSRC2:TGID_Y_EN: 0
; COMPUTE_PGM_RSRC2:TGID_Z_EN: 0
; COMPUTE_PGM_RSRC2:TIDIG_COMP_CNT: 0
; COMPUTE_PGM_RSRC3_GFX90A:ACCUM_OFFSET: 0
; COMPUTE_PGM_RSRC3_GFX90A:TG_SPLIT: 0
	.section	.text._ZN7rocprim17ROCPRIM_400000_NS6detail17trampoline_kernelINS0_14default_configENS1_25partition_config_selectorILNS1_17partition_subalgoE9EllbEEZZNS1_14partition_implILS5_9ELb0ES3_jPKlN6thrust23THRUST_200600_302600_NS17counting_iteratorIlNSB_11use_defaultESD_SD_EEPNS0_10empty_typeENS0_5tupleIJPlSF_EEENSH_IJSI_SG_EEENS0_18inequality_wrapperIN6hipcub16HIPCUB_304000_NS8EqualityEEESI_JSF_EEE10hipError_tPvRmT3_T4_T5_T6_T7_T9_mT8_P12ihipStream_tbDpT10_ENKUlT_T0_E_clISt17integral_constantIbLb0EES18_IbLb1EEEEDaS14_S15_EUlS14_E_NS1_11comp_targetILNS1_3genE9ELNS1_11target_archE1100ELNS1_3gpuE3ELNS1_3repE0EEENS1_30default_config_static_selectorELNS0_4arch9wavefront6targetE1EEEvT1_,"axG",@progbits,_ZN7rocprim17ROCPRIM_400000_NS6detail17trampoline_kernelINS0_14default_configENS1_25partition_config_selectorILNS1_17partition_subalgoE9EllbEEZZNS1_14partition_implILS5_9ELb0ES3_jPKlN6thrust23THRUST_200600_302600_NS17counting_iteratorIlNSB_11use_defaultESD_SD_EEPNS0_10empty_typeENS0_5tupleIJPlSF_EEENSH_IJSI_SG_EEENS0_18inequality_wrapperIN6hipcub16HIPCUB_304000_NS8EqualityEEESI_JSF_EEE10hipError_tPvRmT3_T4_T5_T6_T7_T9_mT8_P12ihipStream_tbDpT10_ENKUlT_T0_E_clISt17integral_constantIbLb0EES18_IbLb1EEEEDaS14_S15_EUlS14_E_NS1_11comp_targetILNS1_3genE9ELNS1_11target_archE1100ELNS1_3gpuE3ELNS1_3repE0EEENS1_30default_config_static_selectorELNS0_4arch9wavefront6targetE1EEEvT1_,comdat
	.protected	_ZN7rocprim17ROCPRIM_400000_NS6detail17trampoline_kernelINS0_14default_configENS1_25partition_config_selectorILNS1_17partition_subalgoE9EllbEEZZNS1_14partition_implILS5_9ELb0ES3_jPKlN6thrust23THRUST_200600_302600_NS17counting_iteratorIlNSB_11use_defaultESD_SD_EEPNS0_10empty_typeENS0_5tupleIJPlSF_EEENSH_IJSI_SG_EEENS0_18inequality_wrapperIN6hipcub16HIPCUB_304000_NS8EqualityEEESI_JSF_EEE10hipError_tPvRmT3_T4_T5_T6_T7_T9_mT8_P12ihipStream_tbDpT10_ENKUlT_T0_E_clISt17integral_constantIbLb0EES18_IbLb1EEEEDaS14_S15_EUlS14_E_NS1_11comp_targetILNS1_3genE9ELNS1_11target_archE1100ELNS1_3gpuE3ELNS1_3repE0EEENS1_30default_config_static_selectorELNS0_4arch9wavefront6targetE1EEEvT1_ ; -- Begin function _ZN7rocprim17ROCPRIM_400000_NS6detail17trampoline_kernelINS0_14default_configENS1_25partition_config_selectorILNS1_17partition_subalgoE9EllbEEZZNS1_14partition_implILS5_9ELb0ES3_jPKlN6thrust23THRUST_200600_302600_NS17counting_iteratorIlNSB_11use_defaultESD_SD_EEPNS0_10empty_typeENS0_5tupleIJPlSF_EEENSH_IJSI_SG_EEENS0_18inequality_wrapperIN6hipcub16HIPCUB_304000_NS8EqualityEEESI_JSF_EEE10hipError_tPvRmT3_T4_T5_T6_T7_T9_mT8_P12ihipStream_tbDpT10_ENKUlT_T0_E_clISt17integral_constantIbLb0EES18_IbLb1EEEEDaS14_S15_EUlS14_E_NS1_11comp_targetILNS1_3genE9ELNS1_11target_archE1100ELNS1_3gpuE3ELNS1_3repE0EEENS1_30default_config_static_selectorELNS0_4arch9wavefront6targetE1EEEvT1_
	.globl	_ZN7rocprim17ROCPRIM_400000_NS6detail17trampoline_kernelINS0_14default_configENS1_25partition_config_selectorILNS1_17partition_subalgoE9EllbEEZZNS1_14partition_implILS5_9ELb0ES3_jPKlN6thrust23THRUST_200600_302600_NS17counting_iteratorIlNSB_11use_defaultESD_SD_EEPNS0_10empty_typeENS0_5tupleIJPlSF_EEENSH_IJSI_SG_EEENS0_18inequality_wrapperIN6hipcub16HIPCUB_304000_NS8EqualityEEESI_JSF_EEE10hipError_tPvRmT3_T4_T5_T6_T7_T9_mT8_P12ihipStream_tbDpT10_ENKUlT_T0_E_clISt17integral_constantIbLb0EES18_IbLb1EEEEDaS14_S15_EUlS14_E_NS1_11comp_targetILNS1_3genE9ELNS1_11target_archE1100ELNS1_3gpuE3ELNS1_3repE0EEENS1_30default_config_static_selectorELNS0_4arch9wavefront6targetE1EEEvT1_
	.p2align	8
	.type	_ZN7rocprim17ROCPRIM_400000_NS6detail17trampoline_kernelINS0_14default_configENS1_25partition_config_selectorILNS1_17partition_subalgoE9EllbEEZZNS1_14partition_implILS5_9ELb0ES3_jPKlN6thrust23THRUST_200600_302600_NS17counting_iteratorIlNSB_11use_defaultESD_SD_EEPNS0_10empty_typeENS0_5tupleIJPlSF_EEENSH_IJSI_SG_EEENS0_18inequality_wrapperIN6hipcub16HIPCUB_304000_NS8EqualityEEESI_JSF_EEE10hipError_tPvRmT3_T4_T5_T6_T7_T9_mT8_P12ihipStream_tbDpT10_ENKUlT_T0_E_clISt17integral_constantIbLb0EES18_IbLb1EEEEDaS14_S15_EUlS14_E_NS1_11comp_targetILNS1_3genE9ELNS1_11target_archE1100ELNS1_3gpuE3ELNS1_3repE0EEENS1_30default_config_static_selectorELNS0_4arch9wavefront6targetE1EEEvT1_,@function
_ZN7rocprim17ROCPRIM_400000_NS6detail17trampoline_kernelINS0_14default_configENS1_25partition_config_selectorILNS1_17partition_subalgoE9EllbEEZZNS1_14partition_implILS5_9ELb0ES3_jPKlN6thrust23THRUST_200600_302600_NS17counting_iteratorIlNSB_11use_defaultESD_SD_EEPNS0_10empty_typeENS0_5tupleIJPlSF_EEENSH_IJSI_SG_EEENS0_18inequality_wrapperIN6hipcub16HIPCUB_304000_NS8EqualityEEESI_JSF_EEE10hipError_tPvRmT3_T4_T5_T6_T7_T9_mT8_P12ihipStream_tbDpT10_ENKUlT_T0_E_clISt17integral_constantIbLb0EES18_IbLb1EEEEDaS14_S15_EUlS14_E_NS1_11comp_targetILNS1_3genE9ELNS1_11target_archE1100ELNS1_3gpuE3ELNS1_3repE0EEENS1_30default_config_static_selectorELNS0_4arch9wavefront6targetE1EEEvT1_: ; @_ZN7rocprim17ROCPRIM_400000_NS6detail17trampoline_kernelINS0_14default_configENS1_25partition_config_selectorILNS1_17partition_subalgoE9EllbEEZZNS1_14partition_implILS5_9ELb0ES3_jPKlN6thrust23THRUST_200600_302600_NS17counting_iteratorIlNSB_11use_defaultESD_SD_EEPNS0_10empty_typeENS0_5tupleIJPlSF_EEENSH_IJSI_SG_EEENS0_18inequality_wrapperIN6hipcub16HIPCUB_304000_NS8EqualityEEESI_JSF_EEE10hipError_tPvRmT3_T4_T5_T6_T7_T9_mT8_P12ihipStream_tbDpT10_ENKUlT_T0_E_clISt17integral_constantIbLb0EES18_IbLb1EEEEDaS14_S15_EUlS14_E_NS1_11comp_targetILNS1_3genE9ELNS1_11target_archE1100ELNS1_3gpuE3ELNS1_3repE0EEENS1_30default_config_static_selectorELNS0_4arch9wavefront6targetE1EEEvT1_
; %bb.0:
	.section	.rodata,"a",@progbits
	.p2align	6, 0x0
	.amdhsa_kernel _ZN7rocprim17ROCPRIM_400000_NS6detail17trampoline_kernelINS0_14default_configENS1_25partition_config_selectorILNS1_17partition_subalgoE9EllbEEZZNS1_14partition_implILS5_9ELb0ES3_jPKlN6thrust23THRUST_200600_302600_NS17counting_iteratorIlNSB_11use_defaultESD_SD_EEPNS0_10empty_typeENS0_5tupleIJPlSF_EEENSH_IJSI_SG_EEENS0_18inequality_wrapperIN6hipcub16HIPCUB_304000_NS8EqualityEEESI_JSF_EEE10hipError_tPvRmT3_T4_T5_T6_T7_T9_mT8_P12ihipStream_tbDpT10_ENKUlT_T0_E_clISt17integral_constantIbLb0EES18_IbLb1EEEEDaS14_S15_EUlS14_E_NS1_11comp_targetILNS1_3genE9ELNS1_11target_archE1100ELNS1_3gpuE3ELNS1_3repE0EEENS1_30default_config_static_selectorELNS0_4arch9wavefront6targetE1EEEvT1_
		.amdhsa_group_segment_fixed_size 0
		.amdhsa_private_segment_fixed_size 0
		.amdhsa_kernarg_size 128
		.amdhsa_user_sgpr_count 2
		.amdhsa_user_sgpr_dispatch_ptr 0
		.amdhsa_user_sgpr_queue_ptr 0
		.amdhsa_user_sgpr_kernarg_segment_ptr 1
		.amdhsa_user_sgpr_dispatch_id 0
		.amdhsa_user_sgpr_kernarg_preload_length 0
		.amdhsa_user_sgpr_kernarg_preload_offset 0
		.amdhsa_user_sgpr_private_segment_size 0
		.amdhsa_uses_dynamic_stack 0
		.amdhsa_enable_private_segment 0
		.amdhsa_system_sgpr_workgroup_id_x 1
		.amdhsa_system_sgpr_workgroup_id_y 0
		.amdhsa_system_sgpr_workgroup_id_z 0
		.amdhsa_system_sgpr_workgroup_info 0
		.amdhsa_system_vgpr_workitem_id 0
		.amdhsa_next_free_vgpr 1
		.amdhsa_next_free_sgpr 0
		.amdhsa_accum_offset 4
		.amdhsa_reserve_vcc 0
		.amdhsa_float_round_mode_32 0
		.amdhsa_float_round_mode_16_64 0
		.amdhsa_float_denorm_mode_32 3
		.amdhsa_float_denorm_mode_16_64 3
		.amdhsa_dx10_clamp 1
		.amdhsa_ieee_mode 1
		.amdhsa_fp16_overflow 0
		.amdhsa_tg_split 0
		.amdhsa_exception_fp_ieee_invalid_op 0
		.amdhsa_exception_fp_denorm_src 0
		.amdhsa_exception_fp_ieee_div_zero 0
		.amdhsa_exception_fp_ieee_overflow 0
		.amdhsa_exception_fp_ieee_underflow 0
		.amdhsa_exception_fp_ieee_inexact 0
		.amdhsa_exception_int_div_zero 0
	.end_amdhsa_kernel
	.section	.text._ZN7rocprim17ROCPRIM_400000_NS6detail17trampoline_kernelINS0_14default_configENS1_25partition_config_selectorILNS1_17partition_subalgoE9EllbEEZZNS1_14partition_implILS5_9ELb0ES3_jPKlN6thrust23THRUST_200600_302600_NS17counting_iteratorIlNSB_11use_defaultESD_SD_EEPNS0_10empty_typeENS0_5tupleIJPlSF_EEENSH_IJSI_SG_EEENS0_18inequality_wrapperIN6hipcub16HIPCUB_304000_NS8EqualityEEESI_JSF_EEE10hipError_tPvRmT3_T4_T5_T6_T7_T9_mT8_P12ihipStream_tbDpT10_ENKUlT_T0_E_clISt17integral_constantIbLb0EES18_IbLb1EEEEDaS14_S15_EUlS14_E_NS1_11comp_targetILNS1_3genE9ELNS1_11target_archE1100ELNS1_3gpuE3ELNS1_3repE0EEENS1_30default_config_static_selectorELNS0_4arch9wavefront6targetE1EEEvT1_,"axG",@progbits,_ZN7rocprim17ROCPRIM_400000_NS6detail17trampoline_kernelINS0_14default_configENS1_25partition_config_selectorILNS1_17partition_subalgoE9EllbEEZZNS1_14partition_implILS5_9ELb0ES3_jPKlN6thrust23THRUST_200600_302600_NS17counting_iteratorIlNSB_11use_defaultESD_SD_EEPNS0_10empty_typeENS0_5tupleIJPlSF_EEENSH_IJSI_SG_EEENS0_18inequality_wrapperIN6hipcub16HIPCUB_304000_NS8EqualityEEESI_JSF_EEE10hipError_tPvRmT3_T4_T5_T6_T7_T9_mT8_P12ihipStream_tbDpT10_ENKUlT_T0_E_clISt17integral_constantIbLb0EES18_IbLb1EEEEDaS14_S15_EUlS14_E_NS1_11comp_targetILNS1_3genE9ELNS1_11target_archE1100ELNS1_3gpuE3ELNS1_3repE0EEENS1_30default_config_static_selectorELNS0_4arch9wavefront6targetE1EEEvT1_,comdat
.Lfunc_end74:
	.size	_ZN7rocprim17ROCPRIM_400000_NS6detail17trampoline_kernelINS0_14default_configENS1_25partition_config_selectorILNS1_17partition_subalgoE9EllbEEZZNS1_14partition_implILS5_9ELb0ES3_jPKlN6thrust23THRUST_200600_302600_NS17counting_iteratorIlNSB_11use_defaultESD_SD_EEPNS0_10empty_typeENS0_5tupleIJPlSF_EEENSH_IJSI_SG_EEENS0_18inequality_wrapperIN6hipcub16HIPCUB_304000_NS8EqualityEEESI_JSF_EEE10hipError_tPvRmT3_T4_T5_T6_T7_T9_mT8_P12ihipStream_tbDpT10_ENKUlT_T0_E_clISt17integral_constantIbLb0EES18_IbLb1EEEEDaS14_S15_EUlS14_E_NS1_11comp_targetILNS1_3genE9ELNS1_11target_archE1100ELNS1_3gpuE3ELNS1_3repE0EEENS1_30default_config_static_selectorELNS0_4arch9wavefront6targetE1EEEvT1_, .Lfunc_end74-_ZN7rocprim17ROCPRIM_400000_NS6detail17trampoline_kernelINS0_14default_configENS1_25partition_config_selectorILNS1_17partition_subalgoE9EllbEEZZNS1_14partition_implILS5_9ELb0ES3_jPKlN6thrust23THRUST_200600_302600_NS17counting_iteratorIlNSB_11use_defaultESD_SD_EEPNS0_10empty_typeENS0_5tupleIJPlSF_EEENSH_IJSI_SG_EEENS0_18inequality_wrapperIN6hipcub16HIPCUB_304000_NS8EqualityEEESI_JSF_EEE10hipError_tPvRmT3_T4_T5_T6_T7_T9_mT8_P12ihipStream_tbDpT10_ENKUlT_T0_E_clISt17integral_constantIbLb0EES18_IbLb1EEEEDaS14_S15_EUlS14_E_NS1_11comp_targetILNS1_3genE9ELNS1_11target_archE1100ELNS1_3gpuE3ELNS1_3repE0EEENS1_30default_config_static_selectorELNS0_4arch9wavefront6targetE1EEEvT1_
                                        ; -- End function
	.section	.AMDGPU.csdata,"",@progbits
; Kernel info:
; codeLenInByte = 0
; NumSgprs: 6
; NumVgprs: 0
; NumAgprs: 0
; TotalNumVgprs: 0
; ScratchSize: 0
; MemoryBound: 0
; FloatMode: 240
; IeeeMode: 1
; LDSByteSize: 0 bytes/workgroup (compile time only)
; SGPRBlocks: 0
; VGPRBlocks: 0
; NumSGPRsForWavesPerEU: 6
; NumVGPRsForWavesPerEU: 1
; AccumOffset: 4
; Occupancy: 8
; WaveLimiterHint : 0
; COMPUTE_PGM_RSRC2:SCRATCH_EN: 0
; COMPUTE_PGM_RSRC2:USER_SGPR: 2
; COMPUTE_PGM_RSRC2:TRAP_HANDLER: 0
; COMPUTE_PGM_RSRC2:TGID_X_EN: 1
; COMPUTE_PGM_RSRC2:TGID_Y_EN: 0
; COMPUTE_PGM_RSRC2:TGID_Z_EN: 0
; COMPUTE_PGM_RSRC2:TIDIG_COMP_CNT: 0
; COMPUTE_PGM_RSRC3_GFX90A:ACCUM_OFFSET: 0
; COMPUTE_PGM_RSRC3_GFX90A:TG_SPLIT: 0
	.section	.text._ZN7rocprim17ROCPRIM_400000_NS6detail17trampoline_kernelINS0_14default_configENS1_25partition_config_selectorILNS1_17partition_subalgoE9EllbEEZZNS1_14partition_implILS5_9ELb0ES3_jPKlN6thrust23THRUST_200600_302600_NS17counting_iteratorIlNSB_11use_defaultESD_SD_EEPNS0_10empty_typeENS0_5tupleIJPlSF_EEENSH_IJSI_SG_EEENS0_18inequality_wrapperIN6hipcub16HIPCUB_304000_NS8EqualityEEESI_JSF_EEE10hipError_tPvRmT3_T4_T5_T6_T7_T9_mT8_P12ihipStream_tbDpT10_ENKUlT_T0_E_clISt17integral_constantIbLb0EES18_IbLb1EEEEDaS14_S15_EUlS14_E_NS1_11comp_targetILNS1_3genE8ELNS1_11target_archE1030ELNS1_3gpuE2ELNS1_3repE0EEENS1_30default_config_static_selectorELNS0_4arch9wavefront6targetE1EEEvT1_,"axG",@progbits,_ZN7rocprim17ROCPRIM_400000_NS6detail17trampoline_kernelINS0_14default_configENS1_25partition_config_selectorILNS1_17partition_subalgoE9EllbEEZZNS1_14partition_implILS5_9ELb0ES3_jPKlN6thrust23THRUST_200600_302600_NS17counting_iteratorIlNSB_11use_defaultESD_SD_EEPNS0_10empty_typeENS0_5tupleIJPlSF_EEENSH_IJSI_SG_EEENS0_18inequality_wrapperIN6hipcub16HIPCUB_304000_NS8EqualityEEESI_JSF_EEE10hipError_tPvRmT3_T4_T5_T6_T7_T9_mT8_P12ihipStream_tbDpT10_ENKUlT_T0_E_clISt17integral_constantIbLb0EES18_IbLb1EEEEDaS14_S15_EUlS14_E_NS1_11comp_targetILNS1_3genE8ELNS1_11target_archE1030ELNS1_3gpuE2ELNS1_3repE0EEENS1_30default_config_static_selectorELNS0_4arch9wavefront6targetE1EEEvT1_,comdat
	.protected	_ZN7rocprim17ROCPRIM_400000_NS6detail17trampoline_kernelINS0_14default_configENS1_25partition_config_selectorILNS1_17partition_subalgoE9EllbEEZZNS1_14partition_implILS5_9ELb0ES3_jPKlN6thrust23THRUST_200600_302600_NS17counting_iteratorIlNSB_11use_defaultESD_SD_EEPNS0_10empty_typeENS0_5tupleIJPlSF_EEENSH_IJSI_SG_EEENS0_18inequality_wrapperIN6hipcub16HIPCUB_304000_NS8EqualityEEESI_JSF_EEE10hipError_tPvRmT3_T4_T5_T6_T7_T9_mT8_P12ihipStream_tbDpT10_ENKUlT_T0_E_clISt17integral_constantIbLb0EES18_IbLb1EEEEDaS14_S15_EUlS14_E_NS1_11comp_targetILNS1_3genE8ELNS1_11target_archE1030ELNS1_3gpuE2ELNS1_3repE0EEENS1_30default_config_static_selectorELNS0_4arch9wavefront6targetE1EEEvT1_ ; -- Begin function _ZN7rocprim17ROCPRIM_400000_NS6detail17trampoline_kernelINS0_14default_configENS1_25partition_config_selectorILNS1_17partition_subalgoE9EllbEEZZNS1_14partition_implILS5_9ELb0ES3_jPKlN6thrust23THRUST_200600_302600_NS17counting_iteratorIlNSB_11use_defaultESD_SD_EEPNS0_10empty_typeENS0_5tupleIJPlSF_EEENSH_IJSI_SG_EEENS0_18inequality_wrapperIN6hipcub16HIPCUB_304000_NS8EqualityEEESI_JSF_EEE10hipError_tPvRmT3_T4_T5_T6_T7_T9_mT8_P12ihipStream_tbDpT10_ENKUlT_T0_E_clISt17integral_constantIbLb0EES18_IbLb1EEEEDaS14_S15_EUlS14_E_NS1_11comp_targetILNS1_3genE8ELNS1_11target_archE1030ELNS1_3gpuE2ELNS1_3repE0EEENS1_30default_config_static_selectorELNS0_4arch9wavefront6targetE1EEEvT1_
	.globl	_ZN7rocprim17ROCPRIM_400000_NS6detail17trampoline_kernelINS0_14default_configENS1_25partition_config_selectorILNS1_17partition_subalgoE9EllbEEZZNS1_14partition_implILS5_9ELb0ES3_jPKlN6thrust23THRUST_200600_302600_NS17counting_iteratorIlNSB_11use_defaultESD_SD_EEPNS0_10empty_typeENS0_5tupleIJPlSF_EEENSH_IJSI_SG_EEENS0_18inequality_wrapperIN6hipcub16HIPCUB_304000_NS8EqualityEEESI_JSF_EEE10hipError_tPvRmT3_T4_T5_T6_T7_T9_mT8_P12ihipStream_tbDpT10_ENKUlT_T0_E_clISt17integral_constantIbLb0EES18_IbLb1EEEEDaS14_S15_EUlS14_E_NS1_11comp_targetILNS1_3genE8ELNS1_11target_archE1030ELNS1_3gpuE2ELNS1_3repE0EEENS1_30default_config_static_selectorELNS0_4arch9wavefront6targetE1EEEvT1_
	.p2align	8
	.type	_ZN7rocprim17ROCPRIM_400000_NS6detail17trampoline_kernelINS0_14default_configENS1_25partition_config_selectorILNS1_17partition_subalgoE9EllbEEZZNS1_14partition_implILS5_9ELb0ES3_jPKlN6thrust23THRUST_200600_302600_NS17counting_iteratorIlNSB_11use_defaultESD_SD_EEPNS0_10empty_typeENS0_5tupleIJPlSF_EEENSH_IJSI_SG_EEENS0_18inequality_wrapperIN6hipcub16HIPCUB_304000_NS8EqualityEEESI_JSF_EEE10hipError_tPvRmT3_T4_T5_T6_T7_T9_mT8_P12ihipStream_tbDpT10_ENKUlT_T0_E_clISt17integral_constantIbLb0EES18_IbLb1EEEEDaS14_S15_EUlS14_E_NS1_11comp_targetILNS1_3genE8ELNS1_11target_archE1030ELNS1_3gpuE2ELNS1_3repE0EEENS1_30default_config_static_selectorELNS0_4arch9wavefront6targetE1EEEvT1_,@function
_ZN7rocprim17ROCPRIM_400000_NS6detail17trampoline_kernelINS0_14default_configENS1_25partition_config_selectorILNS1_17partition_subalgoE9EllbEEZZNS1_14partition_implILS5_9ELb0ES3_jPKlN6thrust23THRUST_200600_302600_NS17counting_iteratorIlNSB_11use_defaultESD_SD_EEPNS0_10empty_typeENS0_5tupleIJPlSF_EEENSH_IJSI_SG_EEENS0_18inequality_wrapperIN6hipcub16HIPCUB_304000_NS8EqualityEEESI_JSF_EEE10hipError_tPvRmT3_T4_T5_T6_T7_T9_mT8_P12ihipStream_tbDpT10_ENKUlT_T0_E_clISt17integral_constantIbLb0EES18_IbLb1EEEEDaS14_S15_EUlS14_E_NS1_11comp_targetILNS1_3genE8ELNS1_11target_archE1030ELNS1_3gpuE2ELNS1_3repE0EEENS1_30default_config_static_selectorELNS0_4arch9wavefront6targetE1EEEvT1_: ; @_ZN7rocprim17ROCPRIM_400000_NS6detail17trampoline_kernelINS0_14default_configENS1_25partition_config_selectorILNS1_17partition_subalgoE9EllbEEZZNS1_14partition_implILS5_9ELb0ES3_jPKlN6thrust23THRUST_200600_302600_NS17counting_iteratorIlNSB_11use_defaultESD_SD_EEPNS0_10empty_typeENS0_5tupleIJPlSF_EEENSH_IJSI_SG_EEENS0_18inequality_wrapperIN6hipcub16HIPCUB_304000_NS8EqualityEEESI_JSF_EEE10hipError_tPvRmT3_T4_T5_T6_T7_T9_mT8_P12ihipStream_tbDpT10_ENKUlT_T0_E_clISt17integral_constantIbLb0EES18_IbLb1EEEEDaS14_S15_EUlS14_E_NS1_11comp_targetILNS1_3genE8ELNS1_11target_archE1030ELNS1_3gpuE2ELNS1_3repE0EEENS1_30default_config_static_selectorELNS0_4arch9wavefront6targetE1EEEvT1_
; %bb.0:
	.section	.rodata,"a",@progbits
	.p2align	6, 0x0
	.amdhsa_kernel _ZN7rocprim17ROCPRIM_400000_NS6detail17trampoline_kernelINS0_14default_configENS1_25partition_config_selectorILNS1_17partition_subalgoE9EllbEEZZNS1_14partition_implILS5_9ELb0ES3_jPKlN6thrust23THRUST_200600_302600_NS17counting_iteratorIlNSB_11use_defaultESD_SD_EEPNS0_10empty_typeENS0_5tupleIJPlSF_EEENSH_IJSI_SG_EEENS0_18inequality_wrapperIN6hipcub16HIPCUB_304000_NS8EqualityEEESI_JSF_EEE10hipError_tPvRmT3_T4_T5_T6_T7_T9_mT8_P12ihipStream_tbDpT10_ENKUlT_T0_E_clISt17integral_constantIbLb0EES18_IbLb1EEEEDaS14_S15_EUlS14_E_NS1_11comp_targetILNS1_3genE8ELNS1_11target_archE1030ELNS1_3gpuE2ELNS1_3repE0EEENS1_30default_config_static_selectorELNS0_4arch9wavefront6targetE1EEEvT1_
		.amdhsa_group_segment_fixed_size 0
		.amdhsa_private_segment_fixed_size 0
		.amdhsa_kernarg_size 128
		.amdhsa_user_sgpr_count 2
		.amdhsa_user_sgpr_dispatch_ptr 0
		.amdhsa_user_sgpr_queue_ptr 0
		.amdhsa_user_sgpr_kernarg_segment_ptr 1
		.amdhsa_user_sgpr_dispatch_id 0
		.amdhsa_user_sgpr_kernarg_preload_length 0
		.amdhsa_user_sgpr_kernarg_preload_offset 0
		.amdhsa_user_sgpr_private_segment_size 0
		.amdhsa_uses_dynamic_stack 0
		.amdhsa_enable_private_segment 0
		.amdhsa_system_sgpr_workgroup_id_x 1
		.amdhsa_system_sgpr_workgroup_id_y 0
		.amdhsa_system_sgpr_workgroup_id_z 0
		.amdhsa_system_sgpr_workgroup_info 0
		.amdhsa_system_vgpr_workitem_id 0
		.amdhsa_next_free_vgpr 1
		.amdhsa_next_free_sgpr 0
		.amdhsa_accum_offset 4
		.amdhsa_reserve_vcc 0
		.amdhsa_float_round_mode_32 0
		.amdhsa_float_round_mode_16_64 0
		.amdhsa_float_denorm_mode_32 3
		.amdhsa_float_denorm_mode_16_64 3
		.amdhsa_dx10_clamp 1
		.amdhsa_ieee_mode 1
		.amdhsa_fp16_overflow 0
		.amdhsa_tg_split 0
		.amdhsa_exception_fp_ieee_invalid_op 0
		.amdhsa_exception_fp_denorm_src 0
		.amdhsa_exception_fp_ieee_div_zero 0
		.amdhsa_exception_fp_ieee_overflow 0
		.amdhsa_exception_fp_ieee_underflow 0
		.amdhsa_exception_fp_ieee_inexact 0
		.amdhsa_exception_int_div_zero 0
	.end_amdhsa_kernel
	.section	.text._ZN7rocprim17ROCPRIM_400000_NS6detail17trampoline_kernelINS0_14default_configENS1_25partition_config_selectorILNS1_17partition_subalgoE9EllbEEZZNS1_14partition_implILS5_9ELb0ES3_jPKlN6thrust23THRUST_200600_302600_NS17counting_iteratorIlNSB_11use_defaultESD_SD_EEPNS0_10empty_typeENS0_5tupleIJPlSF_EEENSH_IJSI_SG_EEENS0_18inequality_wrapperIN6hipcub16HIPCUB_304000_NS8EqualityEEESI_JSF_EEE10hipError_tPvRmT3_T4_T5_T6_T7_T9_mT8_P12ihipStream_tbDpT10_ENKUlT_T0_E_clISt17integral_constantIbLb0EES18_IbLb1EEEEDaS14_S15_EUlS14_E_NS1_11comp_targetILNS1_3genE8ELNS1_11target_archE1030ELNS1_3gpuE2ELNS1_3repE0EEENS1_30default_config_static_selectorELNS0_4arch9wavefront6targetE1EEEvT1_,"axG",@progbits,_ZN7rocprim17ROCPRIM_400000_NS6detail17trampoline_kernelINS0_14default_configENS1_25partition_config_selectorILNS1_17partition_subalgoE9EllbEEZZNS1_14partition_implILS5_9ELb0ES3_jPKlN6thrust23THRUST_200600_302600_NS17counting_iteratorIlNSB_11use_defaultESD_SD_EEPNS0_10empty_typeENS0_5tupleIJPlSF_EEENSH_IJSI_SG_EEENS0_18inequality_wrapperIN6hipcub16HIPCUB_304000_NS8EqualityEEESI_JSF_EEE10hipError_tPvRmT3_T4_T5_T6_T7_T9_mT8_P12ihipStream_tbDpT10_ENKUlT_T0_E_clISt17integral_constantIbLb0EES18_IbLb1EEEEDaS14_S15_EUlS14_E_NS1_11comp_targetILNS1_3genE8ELNS1_11target_archE1030ELNS1_3gpuE2ELNS1_3repE0EEENS1_30default_config_static_selectorELNS0_4arch9wavefront6targetE1EEEvT1_,comdat
.Lfunc_end75:
	.size	_ZN7rocprim17ROCPRIM_400000_NS6detail17trampoline_kernelINS0_14default_configENS1_25partition_config_selectorILNS1_17partition_subalgoE9EllbEEZZNS1_14partition_implILS5_9ELb0ES3_jPKlN6thrust23THRUST_200600_302600_NS17counting_iteratorIlNSB_11use_defaultESD_SD_EEPNS0_10empty_typeENS0_5tupleIJPlSF_EEENSH_IJSI_SG_EEENS0_18inequality_wrapperIN6hipcub16HIPCUB_304000_NS8EqualityEEESI_JSF_EEE10hipError_tPvRmT3_T4_T5_T6_T7_T9_mT8_P12ihipStream_tbDpT10_ENKUlT_T0_E_clISt17integral_constantIbLb0EES18_IbLb1EEEEDaS14_S15_EUlS14_E_NS1_11comp_targetILNS1_3genE8ELNS1_11target_archE1030ELNS1_3gpuE2ELNS1_3repE0EEENS1_30default_config_static_selectorELNS0_4arch9wavefront6targetE1EEEvT1_, .Lfunc_end75-_ZN7rocprim17ROCPRIM_400000_NS6detail17trampoline_kernelINS0_14default_configENS1_25partition_config_selectorILNS1_17partition_subalgoE9EllbEEZZNS1_14partition_implILS5_9ELb0ES3_jPKlN6thrust23THRUST_200600_302600_NS17counting_iteratorIlNSB_11use_defaultESD_SD_EEPNS0_10empty_typeENS0_5tupleIJPlSF_EEENSH_IJSI_SG_EEENS0_18inequality_wrapperIN6hipcub16HIPCUB_304000_NS8EqualityEEESI_JSF_EEE10hipError_tPvRmT3_T4_T5_T6_T7_T9_mT8_P12ihipStream_tbDpT10_ENKUlT_T0_E_clISt17integral_constantIbLb0EES18_IbLb1EEEEDaS14_S15_EUlS14_E_NS1_11comp_targetILNS1_3genE8ELNS1_11target_archE1030ELNS1_3gpuE2ELNS1_3repE0EEENS1_30default_config_static_selectorELNS0_4arch9wavefront6targetE1EEEvT1_
                                        ; -- End function
	.section	.AMDGPU.csdata,"",@progbits
; Kernel info:
; codeLenInByte = 0
; NumSgprs: 6
; NumVgprs: 0
; NumAgprs: 0
; TotalNumVgprs: 0
; ScratchSize: 0
; MemoryBound: 0
; FloatMode: 240
; IeeeMode: 1
; LDSByteSize: 0 bytes/workgroup (compile time only)
; SGPRBlocks: 0
; VGPRBlocks: 0
; NumSGPRsForWavesPerEU: 6
; NumVGPRsForWavesPerEU: 1
; AccumOffset: 4
; Occupancy: 8
; WaveLimiterHint : 0
; COMPUTE_PGM_RSRC2:SCRATCH_EN: 0
; COMPUTE_PGM_RSRC2:USER_SGPR: 2
; COMPUTE_PGM_RSRC2:TRAP_HANDLER: 0
; COMPUTE_PGM_RSRC2:TGID_X_EN: 1
; COMPUTE_PGM_RSRC2:TGID_Y_EN: 0
; COMPUTE_PGM_RSRC2:TGID_Z_EN: 0
; COMPUTE_PGM_RSRC2:TIDIG_COMP_CNT: 0
; COMPUTE_PGM_RSRC3_GFX90A:ACCUM_OFFSET: 0
; COMPUTE_PGM_RSRC3_GFX90A:TG_SPLIT: 0
	.section	.text._ZN2at6native12_GLOBAL__N_124krn_partials_per_segmentIiEEvPT_PKS3_PKll,"axG",@progbits,_ZN2at6native12_GLOBAL__N_124krn_partials_per_segmentIiEEvPT_PKS3_PKll,comdat
	.globl	_ZN2at6native12_GLOBAL__N_124krn_partials_per_segmentIiEEvPT_PKS3_PKll ; -- Begin function _ZN2at6native12_GLOBAL__N_124krn_partials_per_segmentIiEEvPT_PKS3_PKll
	.p2align	8
	.type	_ZN2at6native12_GLOBAL__N_124krn_partials_per_segmentIiEEvPT_PKS3_PKll,@function
_ZN2at6native12_GLOBAL__N_124krn_partials_per_segmentIiEEvPT_PKS3_PKll: ; @_ZN2at6native12_GLOBAL__N_124krn_partials_per_segmentIiEEvPT_PKS3_PKll
; %bb.0:
	s_load_dwordx8 s[4:11], s[0:1], 0x0
	s_load_dword s3, s[0:1], 0x2c
	s_waitcnt lgkmcnt(0)
	s_and_b32 s3, s3, 0xffff
	s_load_dwordx2 s[0:1], s[8:9], 0x0
	s_mul_i32 s2, s2, s3
	v_add_u32_e32 v0, s2, v0
	v_ashrrev_i32_e32 v1, 31, v0
	s_waitcnt lgkmcnt(0)
	v_cmp_gt_i64_e32 vcc, s[0:1], v[0:1]
	s_and_saveexec_b64 s[2:3], vcc
	s_cbranch_execz .LBB76_4
; %bb.1:
	v_mov_b32_e32 v2, s6
	v_mov_b32_e32 v3, s7
	v_lshl_add_u64 v[4:5], v[0:1], 2, v[2:3]
	global_load_dword v6, v[4:5], off
	s_add_u32 s0, s0, -1
	s_addc_u32 s1, s1, -1
	v_cmp_ne_u64_e32 vcc, s[0:1], v[0:1]
	v_mov_b64_e32 v[2:3], s[10:11]
	s_and_saveexec_b64 s[0:1], vcc
	s_cbranch_execz .LBB76_3
; %bb.2:
	global_load_dword v2, v[4:5], off offset:4
	s_waitcnt vmcnt(0)
	v_ashrrev_i32_e32 v3, 31, v2
.LBB76_3:
	s_or_b64 exec, exec, s[0:1]
	s_add_u32 s0, 0, 0x99986000
	s_addc_u32 s1, 0, 0x59
	s_add_i32 s1, s1, 0x19999940
	v_mov_b32_e32 v5, s5
	s_mul_hi_u32 s5, s0, -10
	s_mul_i32 s6, s1, -10
	s_add_i32 s5, s5, s6
	s_mul_i32 s2, s0, -10
	s_sub_i32 s5, s5, s0
	v_mov_b32_e32 v4, s4
	s_mul_hi_u32 s3, s1, s2
	s_mul_i32 s4, s1, s2
	s_mul_i32 s7, s0, s5
	s_mul_hi_u32 s2, s0, s2
	s_mul_hi_u32 s6, s0, s5
	s_add_u32 s2, s2, s7
	s_addc_u32 s6, 0, s6
	s_add_u32 s2, s2, s4
	s_mul_hi_u32 s7, s1, s5
	s_addc_u32 s2, s6, s3
	s_waitcnt vmcnt(0)
	v_ashrrev_i32_e32 v7, 31, v6
	v_sub_co_u32_e32 v2, vcc, v2, v6
	s_addc_u32 s3, s7, 0
	s_mul_i32 s4, s1, s5
	v_subb_co_u32_e32 v3, vcc, v3, v7, vcc
	s_add_u32 s2, s2, s4
	v_lshl_add_u64 v[2:3], v[2:3], 0, 9
	v_mov_b32_e32 v6, s2
	v_add_co_u32_e32 v12, vcc, s0, v6
	v_ashrrev_i32_e32 v6, 31, v3
	s_addc_u32 s3, 0, s3
	v_mov_b32_e32 v7, v6
	s_cmp_lg_u64 vcc, 0
	v_lshl_add_u64 v[2:3], v[2:3], 0, v[6:7]
	s_addc_u32 s2, s1, s3
	v_xor_b32_e32 v14, v2, v6
	v_xor_b32_e32 v7, v3, v6
	v_mad_u64_u32 v[2:3], s[0:1], v14, s2, 0
	v_mul_hi_u32 v8, v14, v12
	v_mov_b32_e32 v9, 0
	v_lshl_add_u64 v[2:3], v[8:9], 0, v[2:3]
	v_mad_u64_u32 v[12:13], s[0:1], v7, v12, 0
	v_add_co_u32_e32 v2, vcc, v2, v12
	v_mad_u64_u32 v[10:11], s[0:1], v7, s2, 0
	s_nop 0
	v_addc_co_u32_e32 v8, vcc, v3, v13, vcc
	v_lshl_add_u64 v[0:1], v[0:1], 2, v[4:5]
	s_nop 0
	v_addc_co_u32_e32 v11, vcc, 0, v11, vcc
	v_lshl_add_u64 v[2:3], v[8:9], 0, v[10:11]
	v_mad_u64_u32 v[8:9], s[0:1], v2, 10, 0
	v_mov_b32_e32 v10, v9
	v_mad_u64_u32 v[10:11], s[0:1], v3, 10, v[10:11]
	v_sub_co_u32_e32 v3, vcc, v14, v8
	s_nop 1
	v_subb_co_u32_e32 v7, vcc, v7, v10, vcc
	v_subrev_co_u32_e32 v8, vcc, 10, v3
	v_add_u32_e32 v10, 1, v2
	s_nop 0
	v_subbrev_co_u32_e32 v9, vcc, 0, v7, vcc
	v_cmp_lt_u32_e32 vcc, 9, v8
	s_nop 1
	v_cndmask_b32_e64 v8, 0, -1, vcc
	v_cmp_eq_u32_e32 vcc, 0, v9
	v_add_u32_e32 v9, 2, v2
	s_nop 0
	v_cndmask_b32_e32 v8, -1, v8, vcc
	v_cmp_ne_u32_e32 vcc, 0, v8
	s_nop 1
	v_cndmask_b32_e32 v8, v10, v9, vcc
	v_cmp_lt_u32_e32 vcc, 9, v3
	s_nop 1
	v_cndmask_b32_e64 v3, 0, -1, vcc
	v_cmp_eq_u32_e32 vcc, 0, v7
	s_nop 1
	v_cndmask_b32_e32 v3, -1, v3, vcc
	v_cmp_ne_u32_e32 vcc, 0, v3
	s_nop 1
	v_cndmask_b32_e32 v2, v2, v8, vcc
	v_xor_b32_e32 v2, v2, v6
	v_sub_u32_e32 v2, v2, v6
	global_store_dword v[0:1], v2, off
.LBB76_4:
	s_endpgm
	.section	.rodata,"a",@progbits
	.p2align	6, 0x0
	.amdhsa_kernel _ZN2at6native12_GLOBAL__N_124krn_partials_per_segmentIiEEvPT_PKS3_PKll
		.amdhsa_group_segment_fixed_size 0
		.amdhsa_private_segment_fixed_size 0
		.amdhsa_kernarg_size 288
		.amdhsa_user_sgpr_count 2
		.amdhsa_user_sgpr_dispatch_ptr 0
		.amdhsa_user_sgpr_queue_ptr 0
		.amdhsa_user_sgpr_kernarg_segment_ptr 1
		.amdhsa_user_sgpr_dispatch_id 0
		.amdhsa_user_sgpr_kernarg_preload_length 0
		.amdhsa_user_sgpr_kernarg_preload_offset 0
		.amdhsa_user_sgpr_private_segment_size 0
		.amdhsa_uses_dynamic_stack 0
		.amdhsa_enable_private_segment 0
		.amdhsa_system_sgpr_workgroup_id_x 1
		.amdhsa_system_sgpr_workgroup_id_y 0
		.amdhsa_system_sgpr_workgroup_id_z 0
		.amdhsa_system_sgpr_workgroup_info 0
		.amdhsa_system_vgpr_workitem_id 0
		.amdhsa_next_free_vgpr 15
		.amdhsa_next_free_sgpr 12
		.amdhsa_accum_offset 16
		.amdhsa_reserve_vcc 1
		.amdhsa_float_round_mode_32 0
		.amdhsa_float_round_mode_16_64 0
		.amdhsa_float_denorm_mode_32 3
		.amdhsa_float_denorm_mode_16_64 3
		.amdhsa_dx10_clamp 1
		.amdhsa_ieee_mode 1
		.amdhsa_fp16_overflow 0
		.amdhsa_tg_split 0
		.amdhsa_exception_fp_ieee_invalid_op 0
		.amdhsa_exception_fp_denorm_src 0
		.amdhsa_exception_fp_ieee_div_zero 0
		.amdhsa_exception_fp_ieee_overflow 0
		.amdhsa_exception_fp_ieee_underflow 0
		.amdhsa_exception_fp_ieee_inexact 0
		.amdhsa_exception_int_div_zero 0
	.end_amdhsa_kernel
	.section	.text._ZN2at6native12_GLOBAL__N_124krn_partials_per_segmentIiEEvPT_PKS3_PKll,"axG",@progbits,_ZN2at6native12_GLOBAL__N_124krn_partials_per_segmentIiEEvPT_PKS3_PKll,comdat
.Lfunc_end76:
	.size	_ZN2at6native12_GLOBAL__N_124krn_partials_per_segmentIiEEvPT_PKS3_PKll, .Lfunc_end76-_ZN2at6native12_GLOBAL__N_124krn_partials_per_segmentIiEEvPT_PKS3_PKll
                                        ; -- End function
	.section	.AMDGPU.csdata,"",@progbits
; Kernel info:
; codeLenInByte = 536
; NumSgprs: 18
; NumVgprs: 15
; NumAgprs: 0
; TotalNumVgprs: 15
; ScratchSize: 0
; MemoryBound: 0
; FloatMode: 240
; IeeeMode: 1
; LDSByteSize: 0 bytes/workgroup (compile time only)
; SGPRBlocks: 2
; VGPRBlocks: 1
; NumSGPRsForWavesPerEU: 18
; NumVGPRsForWavesPerEU: 15
; AccumOffset: 16
; Occupancy: 8
; WaveLimiterHint : 0
; COMPUTE_PGM_RSRC2:SCRATCH_EN: 0
; COMPUTE_PGM_RSRC2:USER_SGPR: 2
; COMPUTE_PGM_RSRC2:TRAP_HANDLER: 0
; COMPUTE_PGM_RSRC2:TGID_X_EN: 1
; COMPUTE_PGM_RSRC2:TGID_Y_EN: 0
; COMPUTE_PGM_RSRC2:TGID_Z_EN: 0
; COMPUTE_PGM_RSRC2:TIDIG_COMP_CNT: 0
; COMPUTE_PGM_RSRC3_GFX90A:ACCUM_OFFSET: 3
; COMPUTE_PGM_RSRC3_GFX90A:TG_SPLIT: 0
	.section	.text._ZN2at6native12_GLOBAL__N_131compute_num_of_partial_segmentsIiEEvPKT_S5_PKlPl,"axG",@progbits,_ZN2at6native12_GLOBAL__N_131compute_num_of_partial_segmentsIiEEvPKT_S5_PKlPl,comdat
	.globl	_ZN2at6native12_GLOBAL__N_131compute_num_of_partial_segmentsIiEEvPKT_S5_PKlPl ; -- Begin function _ZN2at6native12_GLOBAL__N_131compute_num_of_partial_segmentsIiEEvPKT_S5_PKlPl
	.p2align	8
	.type	_ZN2at6native12_GLOBAL__N_131compute_num_of_partial_segmentsIiEEvPKT_S5_PKlPl,@function
_ZN2at6native12_GLOBAL__N_131compute_num_of_partial_segmentsIiEEvPKT_S5_PKlPl: ; @_ZN2at6native12_GLOBAL__N_131compute_num_of_partial_segmentsIiEEvPKT_S5_PKlPl
; %bb.0:
	s_load_dwordx8 s[0:7], s[0:1], 0x0
	v_mov_b32_e32 v2, 0
	s_waitcnt lgkmcnt(0)
	s_load_dwordx2 s[4:5], s[4:5], 0x0
	s_waitcnt lgkmcnt(0)
	s_lshl_b64 s[4:5], s[4:5], 2
	s_add_u32 s0, s0, s4
	s_addc_u32 s1, s1, s5
	s_add_u32 s0, s0, -4
	s_addc_u32 s1, s1, -1
	s_load_dword s8, s[0:1], 0x0
	s_add_u32 s0, s2, s4
	s_addc_u32 s1, s3, s5
	s_add_u32 s0, s0, -4
	s_addc_u32 s1, s1, -1
	s_load_dword s0, s[0:1], 0x0
	s_waitcnt lgkmcnt(0)
	s_add_i32 s0, s0, s8
	s_ashr_i32 s1, s0, 31
	v_mov_b32_e32 v0, s0
	v_mov_b32_e32 v1, s1
	global_store_dwordx2 v2, v[0:1], s[6:7]
	s_endpgm
	.section	.rodata,"a",@progbits
	.p2align	6, 0x0
	.amdhsa_kernel _ZN2at6native12_GLOBAL__N_131compute_num_of_partial_segmentsIiEEvPKT_S5_PKlPl
		.amdhsa_group_segment_fixed_size 0
		.amdhsa_private_segment_fixed_size 0
		.amdhsa_kernarg_size 32
		.amdhsa_user_sgpr_count 2
		.amdhsa_user_sgpr_dispatch_ptr 0
		.amdhsa_user_sgpr_queue_ptr 0
		.amdhsa_user_sgpr_kernarg_segment_ptr 1
		.amdhsa_user_sgpr_dispatch_id 0
		.amdhsa_user_sgpr_kernarg_preload_length 0
		.amdhsa_user_sgpr_kernarg_preload_offset 0
		.amdhsa_user_sgpr_private_segment_size 0
		.amdhsa_uses_dynamic_stack 0
		.amdhsa_enable_private_segment 0
		.amdhsa_system_sgpr_workgroup_id_x 1
		.amdhsa_system_sgpr_workgroup_id_y 0
		.amdhsa_system_sgpr_workgroup_id_z 0
		.amdhsa_system_sgpr_workgroup_info 0
		.amdhsa_system_vgpr_workitem_id 0
		.amdhsa_next_free_vgpr 3
		.amdhsa_next_free_sgpr 9
		.amdhsa_accum_offset 4
		.amdhsa_reserve_vcc 0
		.amdhsa_float_round_mode_32 0
		.amdhsa_float_round_mode_16_64 0
		.amdhsa_float_denorm_mode_32 3
		.amdhsa_float_denorm_mode_16_64 3
		.amdhsa_dx10_clamp 1
		.amdhsa_ieee_mode 1
		.amdhsa_fp16_overflow 0
		.amdhsa_tg_split 0
		.amdhsa_exception_fp_ieee_invalid_op 0
		.amdhsa_exception_fp_denorm_src 0
		.amdhsa_exception_fp_ieee_div_zero 0
		.amdhsa_exception_fp_ieee_overflow 0
		.amdhsa_exception_fp_ieee_underflow 0
		.amdhsa_exception_fp_ieee_inexact 0
		.amdhsa_exception_int_div_zero 0
	.end_amdhsa_kernel
	.section	.text._ZN2at6native12_GLOBAL__N_131compute_num_of_partial_segmentsIiEEvPKT_S5_PKlPl,"axG",@progbits,_ZN2at6native12_GLOBAL__N_131compute_num_of_partial_segmentsIiEEvPKT_S5_PKlPl,comdat
.Lfunc_end77:
	.size	_ZN2at6native12_GLOBAL__N_131compute_num_of_partial_segmentsIiEEvPKT_S5_PKlPl, .Lfunc_end77-_ZN2at6native12_GLOBAL__N_131compute_num_of_partial_segmentsIiEEvPKT_S5_PKlPl
                                        ; -- End function
	.section	.AMDGPU.csdata,"",@progbits
; Kernel info:
; codeLenInByte = 112
; NumSgprs: 15
; NumVgprs: 3
; NumAgprs: 0
; TotalNumVgprs: 3
; ScratchSize: 0
; MemoryBound: 1
; FloatMode: 240
; IeeeMode: 1
; LDSByteSize: 0 bytes/workgroup (compile time only)
; SGPRBlocks: 1
; VGPRBlocks: 0
; NumSGPRsForWavesPerEU: 15
; NumVGPRsForWavesPerEU: 3
; AccumOffset: 4
; Occupancy: 8
; WaveLimiterHint : 1
; COMPUTE_PGM_RSRC2:SCRATCH_EN: 0
; COMPUTE_PGM_RSRC2:USER_SGPR: 2
; COMPUTE_PGM_RSRC2:TRAP_HANDLER: 0
; COMPUTE_PGM_RSRC2:TGID_X_EN: 1
; COMPUTE_PGM_RSRC2:TGID_Y_EN: 0
; COMPUTE_PGM_RSRC2:TGID_Z_EN: 0
; COMPUTE_PGM_RSRC2:TIDIG_COMP_CNT: 0
; COMPUTE_PGM_RSRC3_GFX90A:ACCUM_OFFSET: 0
; COMPUTE_PGM_RSRC3_GFX90A:TG_SPLIT: 0
	.section	.text._ZN2at6native12_GLOBAL__N_126krn_partial_segment_offsetIiEEvPT_PKS3_S6_S6_PKl,"axG",@progbits,_ZN2at6native12_GLOBAL__N_126krn_partial_segment_offsetIiEEvPT_PKS3_S6_S6_PKl,comdat
	.globl	_ZN2at6native12_GLOBAL__N_126krn_partial_segment_offsetIiEEvPT_PKS3_S6_S6_PKl ; -- Begin function _ZN2at6native12_GLOBAL__N_126krn_partial_segment_offsetIiEEvPT_PKS3_S6_S6_PKl
	.p2align	8
	.type	_ZN2at6native12_GLOBAL__N_126krn_partial_segment_offsetIiEEvPT_PKS3_S6_S6_PKl,@function
_ZN2at6native12_GLOBAL__N_126krn_partial_segment_offsetIiEEvPT_PKS3_S6_S6_PKl: ; @_ZN2at6native12_GLOBAL__N_126krn_partial_segment_offsetIiEEvPT_PKS3_S6_S6_PKl
; %bb.0:
	s_load_dwordx2 s[4:5], s[0:1], 0x20
	s_load_dword s3, s[0:1], 0x34
	s_waitcnt lgkmcnt(0)
	s_and_b32 s3, s3, 0xffff
	s_load_dwordx2 s[4:5], s[4:5], 0x0
	s_mul_i32 s2, s2, s3
	v_add_u32_e32 v2, s2, v0
	v_ashrrev_i32_e32 v3, 31, v2
	s_waitcnt lgkmcnt(0)
	v_cmp_gt_i64_e32 vcc, s[4:5], v[2:3]
	s_and_saveexec_b64 s[2:3], vcc
	s_cbranch_execz .LBB78_9
; %bb.1:
	s_load_dwordx8 s[0:7], s[0:1], 0x0
	s_waitcnt lgkmcnt(0)
	v_mov_b32_e32 v0, s2
	v_mov_b32_e32 v1, s3
	v_lshl_add_u64 v[0:1], v[2:3], 2, v[0:1]
	global_load_dword v0, v[0:1], off
	s_waitcnt vmcnt(0)
	v_cmp_lt_i32_e32 vcc, 0, v0
	s_and_b64 exec, exec, vcc
	s_cbranch_execz .LBB78_9
; %bb.2:
	v_lshlrev_b64 v[4:5], 2, v[2:3]
	v_lshl_add_u64 v[2:3], s[6:7], 0, v[4:5]
	v_lshl_add_u64 v[4:5], s[4:5], 0, v[4:5]
	global_load_dword v2, v[2:3], off
	v_ashrrev_i32_e32 v1, 31, v0
	global_load_dword v4, v[4:5], off
	s_mov_b32 s6, 1
	v_cmp_ne_u32_e32 vcc, 1, v0
	s_mov_b64 s[4:5], -1
	v_mov_b64_e32 v[6:7], 0
	s_and_saveexec_b64 s[2:3], vcc
	s_cbranch_execz .LBB78_6
; %bb.3:
	v_and_b32_e32 v6, 0x7ffffffe, v0
	v_mov_b32_e32 v7, 0
	s_mov_b32 s7, 0
	s_mov_b64 s[4:5], 0
	s_waitcnt vmcnt(1)
	v_mov_b32_e32 v8, v2
	s_waitcnt vmcnt(0)
	v_mov_b32_e32 v10, v4
	v_mov_b64_e32 v[12:13], v[6:7]
	v_mov_b32_e32 v3, v2
.LBB78_4:                               ; =>This Inner Loop Header: Depth=1
	v_lshl_add_u64 v[12:13], v[12:13], 0, -2
	v_mad_u64_u32 v[14:15], s[8:9], s6, 10, v[8:9]
	v_mad_u64_u32 v[16:17], s[8:9], s7, 10, v[2:3]
	v_ashrrev_i32_e32 v11, 31, v10
	s_add_i32 s7, s7, 2
	s_add_i32 s6, s6, 2
	v_cmp_eq_u64_e32 vcc, 0, v[12:13]
	v_mov_b32_e32 v17, v14
	v_lshl_add_u64 v[14:15], v[10:11], 2, s[0:1]
	v_add_u32_e32 v10, 2, v10
	s_or_b64 s[4:5], vcc, s[4:5]
	global_store_dwordx2 v[14:15], v[16:17], off
	s_andn2_b64 exec, exec, s[4:5]
	s_cbranch_execnz .LBB78_4
; %bb.5:
	s_or_b64 exec, exec, s[4:5]
	v_cmp_ne_u64_e32 vcc, v[6:7], v[0:1]
	v_add_u32_e32 v4, v4, v6
	s_orn2_b64 s[4:5], vcc, exec
.LBB78_6:
	s_or_b64 exec, exec, s[2:3]
	s_and_b64 exec, exec, s[4:5]
	s_cbranch_execz .LBB78_9
; %bb.7:
	v_sub_co_u32_e32 v0, vcc, v0, v6
	s_waitcnt vmcnt(0)
	v_ashrrev_i32_e32 v5, 31, v4
	v_subb_co_u32_e32 v1, vcc, v1, v7, vcc
	v_mad_u64_u32 v[2:3], s[2:3], v6, 10, v[2:3]
	v_lshl_add_u64 v[4:5], v[4:5], 2, s[0:1]
	s_mov_b64 s[0:1], 0
.LBB78_8:                               ; =>This Inner Loop Header: Depth=1
	v_lshl_add_u64 v[0:1], v[0:1], 0, -1
	v_cmp_eq_u64_e32 vcc, 0, v[0:1]
	global_store_dword v[4:5], v2, off
	v_add_u32_e32 v2, 10, v2
	s_or_b64 s[0:1], vcc, s[0:1]
	v_lshl_add_u64 v[4:5], v[4:5], 0, 4
	s_andn2_b64 exec, exec, s[0:1]
	s_cbranch_execnz .LBB78_8
.LBB78_9:
	s_endpgm
	.section	.rodata,"a",@progbits
	.p2align	6, 0x0
	.amdhsa_kernel _ZN2at6native12_GLOBAL__N_126krn_partial_segment_offsetIiEEvPT_PKS3_S6_S6_PKl
		.amdhsa_group_segment_fixed_size 0
		.amdhsa_private_segment_fixed_size 0
		.amdhsa_kernarg_size 296
		.amdhsa_user_sgpr_count 2
		.amdhsa_user_sgpr_dispatch_ptr 0
		.amdhsa_user_sgpr_queue_ptr 0
		.amdhsa_user_sgpr_kernarg_segment_ptr 1
		.amdhsa_user_sgpr_dispatch_id 0
		.amdhsa_user_sgpr_kernarg_preload_length 0
		.amdhsa_user_sgpr_kernarg_preload_offset 0
		.amdhsa_user_sgpr_private_segment_size 0
		.amdhsa_uses_dynamic_stack 0
		.amdhsa_enable_private_segment 0
		.amdhsa_system_sgpr_workgroup_id_x 1
		.amdhsa_system_sgpr_workgroup_id_y 0
		.amdhsa_system_sgpr_workgroup_id_z 0
		.amdhsa_system_sgpr_workgroup_info 0
		.amdhsa_system_vgpr_workitem_id 0
		.amdhsa_next_free_vgpr 18
		.amdhsa_next_free_sgpr 10
		.amdhsa_accum_offset 20
		.amdhsa_reserve_vcc 1
		.amdhsa_float_round_mode_32 0
		.amdhsa_float_round_mode_16_64 0
		.amdhsa_float_denorm_mode_32 3
		.amdhsa_float_denorm_mode_16_64 3
		.amdhsa_dx10_clamp 1
		.amdhsa_ieee_mode 1
		.amdhsa_fp16_overflow 0
		.amdhsa_tg_split 0
		.amdhsa_exception_fp_ieee_invalid_op 0
		.amdhsa_exception_fp_denorm_src 0
		.amdhsa_exception_fp_ieee_div_zero 0
		.amdhsa_exception_fp_ieee_overflow 0
		.amdhsa_exception_fp_ieee_underflow 0
		.amdhsa_exception_fp_ieee_inexact 0
		.amdhsa_exception_int_div_zero 0
	.end_amdhsa_kernel
	.section	.text._ZN2at6native12_GLOBAL__N_126krn_partial_segment_offsetIiEEvPT_PKS3_S6_S6_PKl,"axG",@progbits,_ZN2at6native12_GLOBAL__N_126krn_partial_segment_offsetIiEEvPT_PKS3_S6_S6_PKl,comdat
.Lfunc_end78:
	.size	_ZN2at6native12_GLOBAL__N_126krn_partial_segment_offsetIiEEvPT_PKS3_S6_S6_PKl, .Lfunc_end78-_ZN2at6native12_GLOBAL__N_126krn_partial_segment_offsetIiEEvPT_PKS3_S6_S6_PKl
                                        ; -- End function
	.section	.AMDGPU.csdata,"",@progbits
; Kernel info:
; codeLenInByte = 416
; NumSgprs: 16
; NumVgprs: 18
; NumAgprs: 0
; TotalNumVgprs: 18
; ScratchSize: 0
; MemoryBound: 0
; FloatMode: 240
; IeeeMode: 1
; LDSByteSize: 0 bytes/workgroup (compile time only)
; SGPRBlocks: 1
; VGPRBlocks: 2
; NumSGPRsForWavesPerEU: 16
; NumVGPRsForWavesPerEU: 18
; AccumOffset: 20
; Occupancy: 8
; WaveLimiterHint : 0
; COMPUTE_PGM_RSRC2:SCRATCH_EN: 0
; COMPUTE_PGM_RSRC2:USER_SGPR: 2
; COMPUTE_PGM_RSRC2:TRAP_HANDLER: 0
; COMPUTE_PGM_RSRC2:TGID_X_EN: 1
; COMPUTE_PGM_RSRC2:TGID_Y_EN: 0
; COMPUTE_PGM_RSRC2:TGID_Z_EN: 0
; COMPUTE_PGM_RSRC2:TIDIG_COMP_CNT: 0
; COMPUTE_PGM_RSRC3_GFX90A:ACCUM_OFFSET: 4
; COMPUTE_PGM_RSRC3_GFX90A:TG_SPLIT: 0
	.section	.text._ZN2at6native12_GLOBAL__N_126krn_partial_to_segment_idxIiEEvPT_PKS3_S6_PKl,"axG",@progbits,_ZN2at6native12_GLOBAL__N_126krn_partial_to_segment_idxIiEEvPT_PKS3_S6_PKl,comdat
	.globl	_ZN2at6native12_GLOBAL__N_126krn_partial_to_segment_idxIiEEvPT_PKS3_S6_PKl ; -- Begin function _ZN2at6native12_GLOBAL__N_126krn_partial_to_segment_idxIiEEvPT_PKS3_S6_PKl
	.p2align	8
	.type	_ZN2at6native12_GLOBAL__N_126krn_partial_to_segment_idxIiEEvPT_PKS3_S6_PKl,@function
_ZN2at6native12_GLOBAL__N_126krn_partial_to_segment_idxIiEEvPT_PKS3_S6_PKl: ; @_ZN2at6native12_GLOBAL__N_126krn_partial_to_segment_idxIiEEvPT_PKS3_S6_PKl
; %bb.0:
	s_load_dwordx8 s[4:11], s[0:1], 0x0
	s_load_dword s3, s[0:1], 0x2c
	s_waitcnt lgkmcnt(0)
	s_and_b32 s3, s3, 0xffff
	s_load_dwordx2 s[0:1], s[10:11], 0x0
	s_mul_i32 s2, s2, s3
	v_add_u32_e32 v0, s2, v0
	v_ashrrev_i32_e32 v1, 31, v0
	s_waitcnt lgkmcnt(0)
	v_cmp_gt_i64_e32 vcc, s[0:1], v[0:1]
	s_and_saveexec_b64 s[0:1], vcc
	s_cbranch_execz .LBB79_9
; %bb.1:
	v_mov_b32_e32 v2, s6
	v_mov_b32_e32 v3, s7
	v_lshl_add_u64 v[2:3], v[0:1], 2, v[2:3]
	global_load_dword v3, v[2:3], off
	s_waitcnt vmcnt(0)
	v_cmp_lt_i32_e32 vcc, 0, v3
	s_and_b64 exec, exec, vcc
	s_cbranch_execz .LBB79_9
; %bb.2:
	v_mov_b32_e32 v4, s8
	v_mov_b32_e32 v5, s9
	v_lshl_add_u64 v[4:5], v[0:1], 2, v[4:5]
	global_load_dword v2, v[4:5], off
	v_cmp_ne_u32_e32 vcc, 1, v3
	s_mov_b64 s[2:3], -1
	v_mov_b32_e32 v6, 0
	s_and_saveexec_b64 s[0:1], vcc
	s_cbranch_execz .LBB79_6
; %bb.3:
	v_and_b32_e32 v6, 0x7ffffffe, v3
	v_mov_b32_e32 v1, v0
	s_mov_b64 s[2:3], 0
	s_waitcnt vmcnt(0)
	v_mov_b32_e32 v4, v2
	v_mov_b32_e32 v7, v6
.LBB79_4:                               ; =>This Inner Loop Header: Depth=1
	v_add_u32_e32 v7, -2, v7
	v_ashrrev_i32_e32 v5, 31, v4
	v_cmp_eq_u32_e32 vcc, 0, v7
	v_lshl_add_u64 v[8:9], v[4:5], 2, s[4:5]
	s_or_b64 s[2:3], vcc, s[2:3]
	v_add_u32_e32 v4, 2, v4
	global_store_dwordx2 v[8:9], v[0:1], off
	s_andn2_b64 exec, exec, s[2:3]
	s_cbranch_execnz .LBB79_4
; %bb.5:
	s_or_b64 exec, exec, s[2:3]
	v_cmp_ne_u32_e32 vcc, v3, v6
	v_add_u32_e32 v2, v2, v6
	s_orn2_b64 s[2:3], vcc, exec
.LBB79_6:
	s_or_b64 exec, exec, s[0:1]
	s_and_b64 exec, exec, s[2:3]
	s_cbranch_execz .LBB79_9
; %bb.7:
	v_sub_u32_e32 v1, v3, v6
	s_waitcnt vmcnt(0)
	v_ashrrev_i32_e32 v3, 31, v2
	v_lshl_add_u64 v[2:3], v[2:3], 2, s[4:5]
	s_mov_b64 s[0:1], 0
.LBB79_8:                               ; =>This Inner Loop Header: Depth=1
	v_add_u32_e32 v1, -1, v1
	v_cmp_eq_u32_e32 vcc, 0, v1
	global_store_dword v[2:3], v0, off
	s_or_b64 s[0:1], vcc, s[0:1]
	v_lshl_add_u64 v[2:3], v[2:3], 0, 4
	s_andn2_b64 exec, exec, s[0:1]
	s_cbranch_execnz .LBB79_8
.LBB79_9:
	s_endpgm
	.section	.rodata,"a",@progbits
	.p2align	6, 0x0
	.amdhsa_kernel _ZN2at6native12_GLOBAL__N_126krn_partial_to_segment_idxIiEEvPT_PKS3_S6_PKl
		.amdhsa_group_segment_fixed_size 0
		.amdhsa_private_segment_fixed_size 0
		.amdhsa_kernarg_size 288
		.amdhsa_user_sgpr_count 2
		.amdhsa_user_sgpr_dispatch_ptr 0
		.amdhsa_user_sgpr_queue_ptr 0
		.amdhsa_user_sgpr_kernarg_segment_ptr 1
		.amdhsa_user_sgpr_dispatch_id 0
		.amdhsa_user_sgpr_kernarg_preload_length 0
		.amdhsa_user_sgpr_kernarg_preload_offset 0
		.amdhsa_user_sgpr_private_segment_size 0
		.amdhsa_uses_dynamic_stack 0
		.amdhsa_enable_private_segment 0
		.amdhsa_system_sgpr_workgroup_id_x 1
		.amdhsa_system_sgpr_workgroup_id_y 0
		.amdhsa_system_sgpr_workgroup_id_z 0
		.amdhsa_system_sgpr_workgroup_info 0
		.amdhsa_system_vgpr_workitem_id 0
		.amdhsa_next_free_vgpr 10
		.amdhsa_next_free_sgpr 12
		.amdhsa_accum_offset 12
		.amdhsa_reserve_vcc 1
		.amdhsa_float_round_mode_32 0
		.amdhsa_float_round_mode_16_64 0
		.amdhsa_float_denorm_mode_32 3
		.amdhsa_float_denorm_mode_16_64 3
		.amdhsa_dx10_clamp 1
		.amdhsa_ieee_mode 1
		.amdhsa_fp16_overflow 0
		.amdhsa_tg_split 0
		.amdhsa_exception_fp_ieee_invalid_op 0
		.amdhsa_exception_fp_denorm_src 0
		.amdhsa_exception_fp_ieee_div_zero 0
		.amdhsa_exception_fp_ieee_overflow 0
		.amdhsa_exception_fp_ieee_underflow 0
		.amdhsa_exception_fp_ieee_inexact 0
		.amdhsa_exception_int_div_zero 0
	.end_amdhsa_kernel
	.section	.text._ZN2at6native12_GLOBAL__N_126krn_partial_to_segment_idxIiEEvPT_PKS3_S6_PKl,"axG",@progbits,_ZN2at6native12_GLOBAL__N_126krn_partial_to_segment_idxIiEEvPT_PKS3_S6_PKl,comdat
.Lfunc_end79:
	.size	_ZN2at6native12_GLOBAL__N_126krn_partial_to_segment_idxIiEEvPT_PKS3_S6_PKl, .Lfunc_end79-_ZN2at6native12_GLOBAL__N_126krn_partial_to_segment_idxIiEEvPT_PKS3_S6_PKl
                                        ; -- End function
	.section	.AMDGPU.csdata,"",@progbits
; Kernel info:
; codeLenInByte = 312
; NumSgprs: 18
; NumVgprs: 10
; NumAgprs: 0
; TotalNumVgprs: 10
; ScratchSize: 0
; MemoryBound: 0
; FloatMode: 240
; IeeeMode: 1
; LDSByteSize: 0 bytes/workgroup (compile time only)
; SGPRBlocks: 2
; VGPRBlocks: 1
; NumSGPRsForWavesPerEU: 18
; NumVGPRsForWavesPerEU: 10
; AccumOffset: 12
; Occupancy: 8
; WaveLimiterHint : 0
; COMPUTE_PGM_RSRC2:SCRATCH_EN: 0
; COMPUTE_PGM_RSRC2:USER_SGPR: 2
; COMPUTE_PGM_RSRC2:TRAP_HANDLER: 0
; COMPUTE_PGM_RSRC2:TGID_X_EN: 1
; COMPUTE_PGM_RSRC2:TGID_Y_EN: 0
; COMPUTE_PGM_RSRC2:TGID_Z_EN: 0
; COMPUTE_PGM_RSRC2:TIDIG_COMP_CNT: 0
; COMPUTE_PGM_RSRC3_GFX90A:ACCUM_OFFSET: 2
; COMPUTE_PGM_RSRC3_GFX90A:TG_SPLIT: 0
	.section	.text._ZN2at6native12_GLOBAL__N_137compute_grad_weight_atomic_accumulateIddiEEvPKT1_PKT_S5_llS5_PKlS5_S5_S5_PT0_ll,"axG",@progbits,_ZN2at6native12_GLOBAL__N_137compute_grad_weight_atomic_accumulateIddiEEvPKT1_PKT_S5_llS5_PKlS5_S5_S5_PT0_ll,comdat
	.globl	_ZN2at6native12_GLOBAL__N_137compute_grad_weight_atomic_accumulateIddiEEvPKT1_PKT_S5_llS5_PKlS5_S5_S5_PT0_ll ; -- Begin function _ZN2at6native12_GLOBAL__N_137compute_grad_weight_atomic_accumulateIddiEEvPKT1_PKT_S5_llS5_PKlS5_S5_S5_PT0_ll
	.p2align	8
	.type	_ZN2at6native12_GLOBAL__N_137compute_grad_weight_atomic_accumulateIddiEEvPKT1_PKT_S5_llS5_PKlS5_S5_S5_PT0_ll,@function
_ZN2at6native12_GLOBAL__N_137compute_grad_weight_atomic_accumulateIddiEEvPKT1_PKT_S5_llS5_PKlS5_S5_S5_PT0_ll: ; @_ZN2at6native12_GLOBAL__N_137compute_grad_weight_atomic_accumulateIddiEEvPKT1_PKT_S5_llS5_PKlS5_S5_S5_PT0_ll
; %bb.0:
	s_load_dword s3, s[0:1], 0x74
	s_load_dwordx2 s[20:21], s[0:1], 0x60
	v_mov_b32_e32 v4, 0
	s_waitcnt lgkmcnt(0)
	s_and_b32 s3, s3, 0xffff
	s_mul_i32 s2, s2, s3
	v_add_u32_e32 v2, s2, v0
	v_ashrrev_i32_e32 v3, 31, v2
	v_or_b32_e32 v5, s21, v3
	v_cmp_ne_u64_e32 vcc, 0, v[4:5]
                                        ; implicit-def: $vgpr0_vgpr1
	s_and_saveexec_b64 s[2:3], vcc
	s_xor_b64 s[4:5], exec, s[2:3]
	s_cbranch_execz .LBB80_2
; %bb.1:
	s_ashr_i32 s6, s21, 31
	s_add_u32 s2, s20, s6
	s_mov_b32 s7, s6
	s_addc_u32 s3, s21, s6
	s_xor_b64 s[8:9], s[2:3], s[6:7]
	v_cvt_f32_u32_e32 v0, s8
	v_cvt_f32_u32_e32 v1, s9
	s_sub_u32 s2, 0, s8
	s_subb_u32 s3, 0, s9
	v_mov_b32_e32 v7, v4
	v_fmamk_f32 v0, v1, 0x4f800000, v0
	v_rcp_f32_e32 v0, v0
	s_nop 0
	v_mul_f32_e32 v0, 0x5f7ffffc, v0
	v_mul_f32_e32 v1, 0x2f800000, v0
	v_trunc_f32_e32 v1, v1
	v_fmamk_f32 v0, v1, 0xcf800000, v0
	v_cvt_u32_f32_e32 v5, v1
	v_cvt_u32_f32_e32 v8, v0
	v_mul_lo_u32 v0, s2, v5
	v_mul_hi_u32 v6, s2, v8
	v_mul_lo_u32 v1, s3, v8
	v_add_u32_e32 v0, v6, v0
	v_mul_lo_u32 v9, s2, v8
	v_add_u32_e32 v10, v0, v1
	v_mul_hi_u32 v1, v8, v10
	v_mul_lo_u32 v0, v8, v10
	v_mul_hi_u32 v6, v8, v9
	v_lshl_add_u64 v[0:1], v[6:7], 0, v[0:1]
	v_mul_hi_u32 v7, v5, v9
	v_mul_lo_u32 v9, v5, v9
	v_add_co_u32_e32 v0, vcc, v0, v9
	v_mul_hi_u32 v6, v5, v10
	s_nop 0
	v_addc_co_u32_e32 v0, vcc, v1, v7, vcc
	v_mov_b32_e32 v1, v4
	s_nop 0
	v_addc_co_u32_e32 v7, vcc, 0, v6, vcc
	v_mul_lo_u32 v6, v5, v10
	v_lshl_add_u64 v[0:1], v[0:1], 0, v[6:7]
	v_add_co_u32_e32 v8, vcc, v8, v0
	v_mul_lo_u32 v6, s2, v8
	s_nop 0
	v_addc_co_u32_e32 v5, vcc, v5, v1, vcc
	v_mul_lo_u32 v0, s2, v5
	v_mul_hi_u32 v1, s2, v8
	v_add_u32_e32 v0, v1, v0
	v_mul_lo_u32 v1, s3, v8
	v_add_u32_e32 v9, v0, v1
	v_mul_hi_u32 v11, v5, v6
	v_mul_lo_u32 v12, v5, v6
	v_mul_hi_u32 v1, v8, v9
	v_mul_lo_u32 v0, v8, v9
	v_mul_hi_u32 v6, v8, v6
	v_mov_b32_e32 v7, v4
	v_lshl_add_u64 v[0:1], v[6:7], 0, v[0:1]
	v_add_co_u32_e32 v0, vcc, v0, v12
	v_mul_hi_u32 v10, v5, v9
	s_nop 0
	v_addc_co_u32_e32 v0, vcc, v1, v11, vcc
	v_mul_lo_u32 v6, v5, v9
	s_nop 0
	v_addc_co_u32_e32 v7, vcc, 0, v10, vcc
	v_mov_b32_e32 v1, v4
	v_lshl_add_u64 v[0:1], v[0:1], 0, v[6:7]
	v_add_co_u32_e32 v10, vcc, v8, v0
	v_mov_b32_e32 v0, v3
	s_nop 0
	v_addc_co_u32_e32 v5, vcc, v5, v1, vcc
	v_mov_b32_e32 v1, v3
	v_lshl_add_u64 v[6:7], v[2:3], 0, v[0:1]
	v_xor_b32_e32 v13, v6, v0
	v_xor_b32_e32 v12, v7, v1
	v_mad_u64_u32 v[6:7], s[2:3], v13, v5, 0
	v_mul_hi_u32 v8, v13, v10
	v_mov_b32_e32 v9, v4
	v_lshl_add_u64 v[6:7], v[8:9], 0, v[6:7]
	v_mad_u64_u32 v[10:11], s[2:3], v12, v10, 0
	v_mad_u64_u32 v[8:9], s[2:3], v12, v5, 0
	v_add_co_u32_e32 v5, vcc, v6, v10
	v_xor_b32_e32 v0, s6, v0
	s_nop 0
	v_addc_co_u32_e32 v6, vcc, v7, v11, vcc
	v_mov_b32_e32 v7, v4
	s_nop 0
	v_addc_co_u32_e32 v9, vcc, 0, v9, vcc
	v_lshl_add_u64 v[4:5], v[6:7], 0, v[8:9]
	v_mul_lo_u32 v8, s9, v4
	v_mul_lo_u32 v9, s8, v5
	v_mad_u64_u32 v[6:7], s[2:3], s8, v4, 0
	v_add3_u32 v10, v7, v9, v8
	v_sub_u32_e32 v7, v12, v10
	v_mov_b32_e32 v8, s9
	v_sub_co_u32_e32 v11, vcc, v13, v6
	v_xor_b32_e32 v1, s6, v1
	s_nop 0
	v_subb_co_u32_e64 v6, s[2:3], v7, v8, vcc
	v_subrev_co_u32_e64 v7, s[2:3], s8, v11
	s_nop 1
	v_subbrev_co_u32_e64 v6, s[2:3], 0, v6, s[2:3]
	v_cmp_le_u32_e64 s[2:3], s9, v6
	s_nop 1
	v_cndmask_b32_e64 v8, 0, -1, s[2:3]
	v_cmp_le_u32_e64 s[2:3], s8, v7
	s_nop 1
	v_cndmask_b32_e64 v7, 0, -1, s[2:3]
	v_cmp_eq_u32_e64 s[2:3], s9, v6
	s_nop 1
	v_cndmask_b32_e64 v13, v8, v7, s[2:3]
	v_lshl_add_u64 v[6:7], v[4:5], 0, 2
	v_lshl_add_u64 v[8:9], v[4:5], 0, 1
	v_cmp_ne_u32_e64 s[2:3], 0, v13
	s_nop 1
	v_cndmask_b32_e64 v7, v9, v7, s[2:3]
	v_subb_co_u32_e32 v9, vcc, v12, v10, vcc
	v_cmp_le_u32_e32 vcc, s9, v9
	v_cndmask_b32_e64 v6, v8, v6, s[2:3]
	s_nop 0
	v_cndmask_b32_e64 v10, 0, -1, vcc
	v_cmp_le_u32_e32 vcc, s8, v11
	s_nop 1
	v_cndmask_b32_e64 v11, 0, -1, vcc
	v_cmp_eq_u32_e32 vcc, s9, v9
	s_nop 1
	v_cndmask_b32_e32 v9, v10, v11, vcc
	v_cmp_ne_u32_e32 vcc, 0, v9
	s_nop 1
	v_cndmask_b32_e32 v4, v4, v6, vcc
	v_cndmask_b32_e32 v5, v5, v7, vcc
	v_xor_b32_e32 v4, v4, v0
	v_xor_b32_e32 v5, v5, v1
	v_sub_co_u32_e32 v0, vcc, v4, v0
	s_nop 1
	v_subb_co_u32_e32 v1, vcc, v5, v1, vcc
.LBB80_2:
	s_or_saveexec_b64 s[2:3], s[4:5]
	s_load_dwordx16 s[4:19], s[0:1], 0x0
	s_xor_b64 exec, exec, s[2:3]
	s_cbranch_execz .LBB80_4
; %bb.3:
	v_cvt_f32_u32_e32 v0, s20
	s_waitcnt lgkmcnt(0)
	s_sub_i32 s11, 0, s20
	v_rcp_iflag_f32_e32 v0, v0
	s_nop 0
	v_mul_f32_e32 v0, 0x4f7ffffe, v0
	v_cvt_u32_f32_e32 v0, v0
	v_mul_lo_u32 v1, s11, v0
	v_mul_hi_u32 v1, v0, v1
	v_add_u32_e32 v0, v0, v1
	v_mul_hi_u32 v0, v2, v0
	v_mul_lo_u32 v1, v0, s20
	v_sub_u32_e32 v1, v2, v1
	v_add_u32_e32 v4, 1, v0
	v_subrev_u32_e32 v5, s20, v1
	v_cmp_le_u32_e32 vcc, s20, v1
	s_nop 1
	v_cndmask_b32_e32 v1, v1, v5, vcc
	v_cndmask_b32_e32 v0, v0, v4, vcc
	v_add_u32_e32 v4, 1, v0
	v_cmp_le_u32_e32 vcc, s20, v1
	v_mov_b32_e32 v1, 0
	s_nop 0
	v_cndmask_b32_e32 v0, v0, v4, vcc
.LBB80_4:
	s_or_b64 exec, exec, s[2:3]
	v_mul_lo_u32 v1, v1, s20
	v_mul_lo_u32 v6, v0, s21
	v_mad_u64_u32 v[4:5], s[2:3], v0, s20, 0
	v_add3_u32 v1, v5, v6, v1
	v_sub_co_u32_e32 v2, vcc, v2, v4
	s_nop 1
	v_subb_co_u32_e32 v3, vcc, v3, v1, vcc
	s_waitcnt lgkmcnt(0)
	v_cmp_gt_i64_e32 vcc, s[12:13], v[2:3]
	s_and_saveexec_b64 s[2:3], vcc
	s_cbranch_execz .LBB80_19
; %bb.5:
	s_load_dwordx2 s[2:3], s[16:17], 0x0
	v_ashrrev_i32_e32 v1, 31, v0
	s_waitcnt lgkmcnt(0)
	v_cmp_gt_i64_e32 vcc, s[2:3], v[0:1]
	s_and_b64 exec, exec, vcc
	s_cbranch_execz .LBB80_19
; %bb.6:
	v_lshl_add_u64 v[4:5], v[0:1], 2, s[14:15]
	global_load_dword v4, v[4:5], off
	s_add_u32 s2, s2, -1
	s_addc_u32 s3, s3, -1
	v_cmp_ne_u64_e32 vcc, s[2:3], v[0:1]
                                        ; implicit-def: $vgpr16
	s_and_saveexec_b64 s[2:3], vcc
	s_xor_b64 s[2:3], exec, s[2:3]
	s_cbranch_execz .LBB80_8
; %bb.7:
	s_mov_b32 s16, 0
	v_mov_b32_e32 v6, 0
	v_mov_b32_e32 v7, v0
	s_mov_b32 s17, 1
	v_lshl_add_u64 v[6:7], v[6:7], 0, s[16:17]
	v_ashrrev_i64 v[6:7], 30, v[6:7]
	v_lshl_add_u64 v[6:7], s[14:15], 0, v[6:7]
	global_load_dword v16, v[6:7], off
.LBB80_8:
	s_or_saveexec_b64 s[2:3], s[2:3]
	s_load_dwordx8 s[20:27], s[0:1], 0x40
	s_xor_b64 exec, exec, s[2:3]
	s_cbranch_execz .LBB80_10
; %bb.9:
	s_waitcnt vmcnt(0)
	v_mov_b32_e32 v16, s10
.LBB80_10:
	s_or_b64 exec, exec, s[2:3]
	s_waitcnt vmcnt(0)
	v_cmp_lt_i32_e32 vcc, v4, v16
	v_mov_b64_e32 v[6:7], 0
	s_and_saveexec_b64 s[2:3], vcc
	s_cbranch_execz .LBB80_17
; %bb.11:
	s_cmp_lg_u64 s[8:9], 0
	v_mov_b32_e32 v6, s6
	v_mov_b32_e32 v7, s7
	v_ashrrev_i32_e32 v5, 31, v4
	s_cselect_b64 s[0:1], -1, 0
	v_lshl_add_u64 v[8:9], v[2:3], 3, v[6:7]
	v_lshlrev_b64 v[6:7], 2, v[4:5]
	v_cndmask_b32_e64 v5, 0, 1, s[0:1]
	s_mov_b64 s[6:7], 0
	v_lshl_add_u64 v[10:11], s[4:5], 0, v[6:7]
	v_lshl_add_u64 v[12:13], s[8:9], 0, v[6:7]
	v_mov_b64_e32 v[6:7], 0
	v_cmp_ne_u32_e64 s[0:1], 1, v5
	s_branch .LBB80_14
.LBB80_12:                              ;   in Loop: Header=BB80_14 Depth=1
	global_load_dword v14, v[12:13], off
	s_waitcnt vmcnt(0)
	v_cvt_f64_i32_e32 v[14:15], v14
	v_div_scale_f64 v[18:19], s[4:5], v[14:15], v[14:15], 1.0
	v_rcp_f64_e32 v[20:21], v[18:19]
	v_div_scale_f64 v[22:23], vcc, 1.0, v[14:15], 1.0
	v_fma_f64 v[24:25], -v[18:19], v[20:21], 1.0
	v_fmac_f64_e32 v[20:21], v[20:21], v[24:25]
	v_fma_f64 v[24:25], -v[18:19], v[20:21], 1.0
	v_fmac_f64_e32 v[20:21], v[20:21], v[24:25]
	v_mul_f64 v[24:25], v[22:23], v[20:21]
	v_fma_f64 v[18:19], -v[18:19], v[24:25], v[22:23]
	v_div_fmas_f64 v[18:19], v[18:19], v[20:21], v[24:25]
	v_div_fixup_f64 v[14:15], v[18:19], v[14:15], 1.0
.LBB80_13:                              ;   in Loop: Header=BB80_14 Depth=1
	s_waitcnt vmcnt(0)
	v_ashrrev_i32_e32 v17, 31, v5
	v_mul_lo_u32 v20, v5, s13
	v_mul_lo_u32 v17, v17, s12
	v_mad_u64_u32 v[18:19], s[4:5], v5, s12, 0
	v_add3_u32 v19, v19, v20, v17
	v_lshl_add_u64 v[18:19], v[18:19], 3, v[8:9]
	global_load_dwordx2 v[18:19], v[18:19], off
	v_add_u32_e32 v4, 1, v4
	v_cmp_ge_i32_e32 vcc, v4, v16
	v_lshl_add_u64 v[10:11], v[10:11], 0, 4
	s_or_b64 s[6:7], vcc, s[6:7]
	v_lshl_add_u64 v[12:13], v[12:13], 0, 4
	s_waitcnt vmcnt(0)
	v_fmac_f64_e32 v[6:7], v[14:15], v[18:19]
	s_andn2_b64 exec, exec, s[6:7]
	s_cbranch_execz .LBB80_16
.LBB80_14:                              ; =>This Inner Loop Header: Depth=1
	global_load_dword v5, v[10:11], off
	s_and_b64 vcc, exec, s[0:1]
	s_cbranch_vccz .LBB80_12
; %bb.15:                               ;   in Loop: Header=BB80_14 Depth=1
	v_mov_b64_e32 v[14:15], 1.0
	s_branch .LBB80_13
.LBB80_16:
	s_or_b64 exec, exec, s[6:7]
.LBB80_17:
	s_or_b64 exec, exec, s[2:3]
	s_waitcnt lgkmcnt(0)
	v_mov_b32_e32 v4, s20
	v_mov_b32_e32 v5, s21
	v_lshl_add_u64 v[0:1], v[0:1], 2, v[4:5]
	global_load_dword v0, v[0:1], off
	v_mov_b32_e32 v4, s22
	v_mov_b32_e32 v5, s23
	s_waitcnt vmcnt(0)
	v_ashrrev_i32_e32 v1, 31, v0
	v_lshl_add_u64 v[0:1], v[0:1], 2, v[4:5]
	global_load_dword v0, v[0:1], off
	v_mov_b32_e32 v4, s18
	v_mov_b32_e32 v5, s19
	s_waitcnt vmcnt(0)
	v_ashrrev_i32_e32 v1, 31, v0
	v_lshl_add_u64 v[0:1], v[0:1], 2, v[4:5]
	global_load_dword v0, v[0:1], off
	s_waitcnt vmcnt(0)
	v_ashrrev_i32_e32 v1, 31, v0
	v_cmp_ne_u64_e32 vcc, s[26:27], v[0:1]
	s_and_b64 exec, exec, vcc
	s_cbranch_execz .LBB80_19
; %bb.18:
	v_mul_lo_u32 v8, v1, s12
	v_mul_lo_u32 v9, v0, s13
	v_mad_u64_u32 v[0:1], s[0:1], v0, s12, 0
	v_mov_b32_e32 v4, s24
	v_mov_b32_e32 v5, s25
	v_add3_u32 v1, v1, v9, v8
	v_lshl_add_u64 v[0:1], v[0:1], 3, v[4:5]
	v_lshl_add_u64 v[0:1], v[2:3], 3, v[0:1]
	global_atomic_add_f64 v[0:1], v[6:7], off sc1
.LBB80_19:
	s_endpgm
	.section	.rodata,"a",@progbits
	.p2align	6, 0x0
	.amdhsa_kernel _ZN2at6native12_GLOBAL__N_137compute_grad_weight_atomic_accumulateIddiEEvPKT1_PKT_S5_llS5_PKlS5_S5_S5_PT0_ll
		.amdhsa_group_segment_fixed_size 0
		.amdhsa_private_segment_fixed_size 0
		.amdhsa_kernarg_size 360
		.amdhsa_user_sgpr_count 2
		.amdhsa_user_sgpr_dispatch_ptr 0
		.amdhsa_user_sgpr_queue_ptr 0
		.amdhsa_user_sgpr_kernarg_segment_ptr 1
		.amdhsa_user_sgpr_dispatch_id 0
		.amdhsa_user_sgpr_kernarg_preload_length 0
		.amdhsa_user_sgpr_kernarg_preload_offset 0
		.amdhsa_user_sgpr_private_segment_size 0
		.amdhsa_uses_dynamic_stack 0
		.amdhsa_enable_private_segment 0
		.amdhsa_system_sgpr_workgroup_id_x 1
		.amdhsa_system_sgpr_workgroup_id_y 0
		.amdhsa_system_sgpr_workgroup_id_z 0
		.amdhsa_system_sgpr_workgroup_info 0
		.amdhsa_system_vgpr_workitem_id 0
		.amdhsa_next_free_vgpr 26
		.amdhsa_next_free_sgpr 28
		.amdhsa_accum_offset 28
		.amdhsa_reserve_vcc 1
		.amdhsa_float_round_mode_32 0
		.amdhsa_float_round_mode_16_64 0
		.amdhsa_float_denorm_mode_32 3
		.amdhsa_float_denorm_mode_16_64 3
		.amdhsa_dx10_clamp 1
		.amdhsa_ieee_mode 1
		.amdhsa_fp16_overflow 0
		.amdhsa_tg_split 0
		.amdhsa_exception_fp_ieee_invalid_op 0
		.amdhsa_exception_fp_denorm_src 0
		.amdhsa_exception_fp_ieee_div_zero 0
		.amdhsa_exception_fp_ieee_overflow 0
		.amdhsa_exception_fp_ieee_underflow 0
		.amdhsa_exception_fp_ieee_inexact 0
		.amdhsa_exception_int_div_zero 0
	.end_amdhsa_kernel
	.section	.text._ZN2at6native12_GLOBAL__N_137compute_grad_weight_atomic_accumulateIddiEEvPKT1_PKT_S5_llS5_PKlS5_S5_S5_PT0_ll,"axG",@progbits,_ZN2at6native12_GLOBAL__N_137compute_grad_weight_atomic_accumulateIddiEEvPKT1_PKT_S5_llS5_PKlS5_S5_S5_PT0_ll,comdat
.Lfunc_end80:
	.size	_ZN2at6native12_GLOBAL__N_137compute_grad_weight_atomic_accumulateIddiEEvPKT1_PKT_S5_llS5_PKlS5_S5_S5_PT0_ll, .Lfunc_end80-_ZN2at6native12_GLOBAL__N_137compute_grad_weight_atomic_accumulateIddiEEvPKT1_PKT_S5_llS5_PKlS5_S5_S5_PT0_ll
                                        ; -- End function
	.section	.AMDGPU.csdata,"",@progbits
; Kernel info:
; codeLenInByte = 1680
; NumSgprs: 34
; NumVgprs: 26
; NumAgprs: 0
; TotalNumVgprs: 26
; ScratchSize: 0
; MemoryBound: 0
; FloatMode: 240
; IeeeMode: 1
; LDSByteSize: 0 bytes/workgroup (compile time only)
; SGPRBlocks: 4
; VGPRBlocks: 3
; NumSGPRsForWavesPerEU: 34
; NumVGPRsForWavesPerEU: 26
; AccumOffset: 28
; Occupancy: 8
; WaveLimiterHint : 1
; COMPUTE_PGM_RSRC2:SCRATCH_EN: 0
; COMPUTE_PGM_RSRC2:USER_SGPR: 2
; COMPUTE_PGM_RSRC2:TRAP_HANDLER: 0
; COMPUTE_PGM_RSRC2:TGID_X_EN: 1
; COMPUTE_PGM_RSRC2:TGID_Y_EN: 0
; COMPUTE_PGM_RSRC2:TGID_Z_EN: 0
; COMPUTE_PGM_RSRC2:TIDIG_COMP_CNT: 0
; COMPUTE_PGM_RSRC3_GFX90A:ACCUM_OFFSET: 6
; COMPUTE_PGM_RSRC3_GFX90A:TG_SPLIT: 0
	.section	.text._ZN2at6native12_GLOBAL__N_124compute_grad_weight_bagsIdiEEvPKT0_PKT_S5_S5_lliS5_S8_lS5_PKlPNS_14AccumulateTypeIS6_Lb1EE4typeEl,"axG",@progbits,_ZN2at6native12_GLOBAL__N_124compute_grad_weight_bagsIdiEEvPKT0_PKT_S5_S5_lliS5_S8_lS5_PKlPNS_14AccumulateTypeIS6_Lb1EE4typeEl,comdat
	.globl	_ZN2at6native12_GLOBAL__N_124compute_grad_weight_bagsIdiEEvPKT0_PKT_S5_S5_lliS5_S8_lS5_PKlPNS_14AccumulateTypeIS6_Lb1EE4typeEl ; -- Begin function _ZN2at6native12_GLOBAL__N_124compute_grad_weight_bagsIdiEEvPKT0_PKT_S5_S5_lliS5_S8_lS5_PKlPNS_14AccumulateTypeIS6_Lb1EE4typeEl
	.p2align	8
	.type	_ZN2at6native12_GLOBAL__N_124compute_grad_weight_bagsIdiEEvPKT0_PKT_S5_S5_lliS5_S8_lS5_PKlPNS_14AccumulateTypeIS6_Lb1EE4typeEl,@function
_ZN2at6native12_GLOBAL__N_124compute_grad_weight_bagsIdiEEvPKT0_PKT_S5_S5_lliS5_S8_lS5_PKlPNS_14AccumulateTypeIS6_Lb1EE4typeEl: ; @_ZN2at6native12_GLOBAL__N_124compute_grad_weight_bagsIdiEEvPKT0_PKT_S5_S5_lliS5_S8_lS5_PKlPNS_14AccumulateTypeIS6_Lb1EE4typeEl
; %bb.0:
	s_load_dword s3, s[0:1], 0x7c
	s_load_dwordx4 s[4:7], s[0:1], 0x58
	s_load_dwordx2 s[8:9], s[0:1], 0x68
	v_mov_b32_e32 v1, 0
	v_mov_b32_e32 v2, s2
	s_waitcnt lgkmcnt(0)
	s_and_b32 s3, s3, 0xffff
	v_mad_u64_u32 v[4:5], s[2:3], s3, v2, v[0:1]
	v_or_b32_e32 v3, s9, v5
	v_mov_b32_e32 v2, v1
	v_cmp_ne_u64_e32 vcc, 0, v[2:3]
                                        ; implicit-def: $vgpr2_vgpr3
	s_and_saveexec_b64 s[2:3], vcc
	s_xor_b64 s[10:11], exec, s[2:3]
	s_cbranch_execz .LBB81_2
; %bb.1:
	s_ashr_i32 s12, s9, 31
	s_add_u32 s2, s8, s12
	s_mov_b32 s13, s12
	s_addc_u32 s3, s9, s12
	s_xor_b64 s[14:15], s[2:3], s[12:13]
	v_cvt_f32_u32_e32 v0, s14
	v_cvt_f32_u32_e32 v2, s15
	s_sub_u32 s2, 0, s14
	s_subb_u32 s3, 0, s15
	v_fmamk_f32 v0, v2, 0x4f800000, v0
	v_rcp_f32_e32 v0, v0
	s_nop 0
	v_mul_f32_e32 v0, 0x5f7ffffc, v0
	v_mul_f32_e32 v2, 0x2f800000, v0
	v_trunc_f32_e32 v2, v2
	v_fmamk_f32 v0, v2, 0xcf800000, v0
	v_cvt_u32_f32_e32 v6, v2
	v_cvt_u32_f32_e32 v7, v0
	v_mul_lo_u32 v0, s2, v6
	v_mul_hi_u32 v3, s2, v7
	v_mul_lo_u32 v2, s3, v7
	v_add_u32_e32 v0, v3, v0
	v_mul_lo_u32 v8, s2, v7
	v_add_u32_e32 v9, v0, v2
	v_mul_hi_u32 v3, v7, v9
	v_mul_lo_u32 v2, v7, v9
	v_mul_hi_u32 v0, v7, v8
	v_lshl_add_u64 v[2:3], v[0:1], 0, v[2:3]
	v_mul_hi_u32 v0, v6, v8
	v_mul_lo_u32 v8, v6, v8
	v_add_co_u32_e32 v2, vcc, v2, v8
	v_mul_hi_u32 v10, v6, v9
	s_nop 0
	v_addc_co_u32_e32 v0, vcc, v3, v0, vcc
	v_mul_lo_u32 v2, v6, v9
	s_nop 0
	v_addc_co_u32_e32 v3, vcc, 0, v10, vcc
	v_lshl_add_u64 v[2:3], v[0:1], 0, v[2:3]
	v_add_co_u32_e32 v7, vcc, v7, v2
	v_mul_hi_u32 v2, s2, v7
	s_nop 0
	v_addc_co_u32_e32 v6, vcc, v6, v3, vcc
	v_mul_lo_u32 v0, s2, v6
	v_add_u32_e32 v0, v2, v0
	v_mul_lo_u32 v2, s3, v7
	v_add_u32_e32 v8, v0, v2
	v_mul_lo_u32 v0, s2, v7
	v_mul_hi_u32 v10, v6, v0
	v_mul_lo_u32 v11, v6, v0
	v_mul_hi_u32 v3, v7, v8
	;; [unrolled: 2-line block ×3, first 2 shown]
	v_lshl_add_u64 v[2:3], v[0:1], 0, v[2:3]
	v_add_co_u32_e32 v0, vcc, v2, v11
	v_mul_hi_u32 v9, v6, v8
	s_nop 0
	v_addc_co_u32_e32 v0, vcc, v3, v10, vcc
	v_mul_lo_u32 v2, v6, v8
	s_nop 0
	v_addc_co_u32_e32 v3, vcc, 0, v9, vcc
	v_lshl_add_u64 v[2:3], v[0:1], 0, v[2:3]
	v_add_co_u32_e32 v10, vcc, v7, v2
	v_ashrrev_i32_e32 v2, 31, v5
	s_nop 0
	v_addc_co_u32_e32 v8, vcc, v6, v3, vcc
	v_mov_b32_e32 v3, v2
	v_lshl_add_u64 v[6:7], v[4:5], 0, v[2:3]
	v_xor_b32_e32 v12, v6, v2
	v_xor_b32_e32 v3, v7, v2
	v_mad_u64_u32 v[6:7], s[2:3], v12, v8, 0
	v_mul_hi_u32 v0, v12, v10
	v_lshl_add_u64 v[6:7], v[0:1], 0, v[6:7]
	v_mad_u64_u32 v[10:11], s[2:3], v3, v10, 0
	v_add_co_u32_e32 v0, vcc, v6, v10
	v_mad_u64_u32 v[8:9], s[2:3], v3, v8, 0
	s_nop 0
	v_addc_co_u32_e32 v0, vcc, v7, v11, vcc
	s_nop 1
	v_addc_co_u32_e32 v9, vcc, 0, v9, vcc
	v_lshl_add_u64 v[0:1], v[0:1], 0, v[8:9]
	v_mul_lo_u32 v8, s15, v0
	v_mul_lo_u32 v9, s14, v1
	v_mad_u64_u32 v[6:7], s[2:3], s14, v0, 0
	v_add3_u32 v10, v7, v9, v8
	v_sub_u32_e32 v7, v3, v10
	v_mov_b32_e32 v8, s15
	v_sub_co_u32_e32 v11, vcc, v12, v6
	s_nop 1
	v_subb_co_u32_e64 v6, s[2:3], v7, v8, vcc
	v_subrev_co_u32_e64 v7, s[2:3], s14, v11
	v_subb_co_u32_e32 v3, vcc, v3, v10, vcc
	s_nop 0
	v_subbrev_co_u32_e64 v6, s[2:3], 0, v6, s[2:3]
	v_cmp_le_u32_e64 s[2:3], s15, v6
	v_cmp_le_u32_e32 vcc, s15, v3
	s_nop 0
	v_cndmask_b32_e64 v8, 0, -1, s[2:3]
	v_cmp_le_u32_e64 s[2:3], s14, v7
	s_nop 1
	v_cndmask_b32_e64 v7, 0, -1, s[2:3]
	v_cmp_eq_u32_e64 s[2:3], s15, v6
	s_nop 1
	v_cndmask_b32_e64 v12, v8, v7, s[2:3]
	v_lshl_add_u64 v[6:7], v[0:1], 0, 2
	v_lshl_add_u64 v[8:9], v[0:1], 0, 1
	v_cmp_ne_u32_e64 s[2:3], 0, v12
	s_nop 1
	v_cndmask_b32_e64 v7, v9, v7, s[2:3]
	v_cndmask_b32_e64 v9, 0, -1, vcc
	v_cmp_le_u32_e32 vcc, s14, v11
	s_nop 1
	v_cndmask_b32_e64 v10, 0, -1, vcc
	v_cmp_eq_u32_e32 vcc, s15, v3
	s_nop 1
	v_cndmask_b32_e32 v3, v9, v10, vcc
	v_cmp_ne_u32_e32 vcc, 0, v3
	v_cndmask_b32_e64 v3, v8, v6, s[2:3]
	s_nop 0
	v_cndmask_b32_e32 v0, v0, v3, vcc
	v_xor_b32_e32 v3, s12, v2
	v_cndmask_b32_e32 v1, v1, v7, vcc
	v_xor_b32_e32 v0, v0, v3
	v_xor_b32_e32 v1, v1, v3
	v_sub_co_u32_e32 v2, vcc, v0, v3
	s_nop 1
	v_subb_co_u32_e32 v3, vcc, v1, v3, vcc
.LBB81_2:
	s_or_saveexec_b64 s[2:3], s[10:11]
	s_load_dwordx2 s[4:5], s[4:5], 0x0
	s_xor_b64 exec, exec, s[2:3]
	s_cbranch_execz .LBB81_4
; %bb.3:
	v_cvt_f32_u32_e32 v0, s8
	s_sub_i32 s10, 0, s8
	v_rcp_iflag_f32_e32 v0, v0
	s_nop 0
	v_mul_f32_e32 v0, 0x4f7ffffe, v0
	v_cvt_u32_f32_e32 v0, v0
	v_mul_lo_u32 v1, s10, v0
	v_mul_hi_u32 v1, v0, v1
	v_add_u32_e32 v0, v0, v1
	v_mul_hi_u32 v0, v4, v0
	v_mul_lo_u32 v1, v0, s8
	v_sub_u32_e32 v1, v4, v1
	v_add_u32_e32 v2, 1, v0
	v_subrev_u32_e32 v3, s8, v1
	v_cmp_le_u32_e32 vcc, s8, v1
	s_nop 1
	v_cndmask_b32_e32 v1, v1, v3, vcc
	v_cndmask_b32_e32 v0, v0, v2, vcc
	v_add_u32_e32 v2, 1, v0
	v_cmp_le_u32_e32 vcc, s8, v1
	v_mov_b32_e32 v3, 0
	s_nop 0
	v_cndmask_b32_e32 v2, v0, v2, vcc
.LBB81_4:
	s_or_b64 exec, exec, s[2:3]
	s_load_dwordx4 s[24:27], s[0:1], 0x20
	v_mul_lo_u32 v6, v3, s8
	v_mul_lo_u32 v7, v2, s9
	v_mad_u64_u32 v[0:1], s[2:3], v2, s8, 0
	v_add3_u32 v1, v1, v7, v6
	v_sub_co_u32_e32 v0, vcc, v4, v0
	s_waitcnt lgkmcnt(0)
	v_cmp_gt_i64_e64 s[2:3], s[4:5], v[2:3]
	v_subb_co_u32_e32 v1, vcc, v5, v1, vcc
	v_cmp_gt_i64_e32 vcc, s[26:27], v[0:1]
	s_and_b64 s[2:3], vcc, s[2:3]
	s_and_saveexec_b64 s[8:9], s[2:3]
	s_cbranch_execz .LBB81_20
; %bb.5:
	s_load_dwordx8 s[8:15], s[0:1], 0x38
	s_load_dwordx8 s[16:23], s[0:1], 0x0
	s_add_u32 s2, s4, -1
	s_addc_u32 s3, s5, -1
	v_cmp_ne_u64_e32 vcc, s[2:3], v[2:3]
	s_waitcnt lgkmcnt(0)
	v_mov_b32_e32 v4, s14
	v_mov_b32_e32 v5, s15
	v_lshl_add_u64 v[6:7], v[2:3], 2, v[4:5]
	global_load_dword v4, v[6:7], off
                                        ; implicit-def: $vgpr20
	s_and_saveexec_b64 s[2:3], vcc
	s_xor_b64 s[2:3], exec, s[2:3]
	s_cbranch_execz .LBB81_7
; %bb.6:
	global_load_dword v20, v[6:7], off offset:4
.LBB81_7:
	s_andn2_saveexec_b64 s[2:3], s[2:3]
	s_cbranch_execz .LBB81_9
; %bb.8:
	s_waitcnt vmcnt(0)
	v_mov_b32_e32 v20, s24
.LBB81_9:
	s_or_b64 exec, exec, s[2:3]
	s_waitcnt vmcnt(0)
	v_cmp_lt_i32_e32 vcc, v4, v20
	v_mov_b64_e32 v[6:7], 0
	s_and_saveexec_b64 s[14:15], vcc
	s_cbranch_execz .LBB81_19
; %bb.10:
	s_load_dword s4, s[0:1], 0x30
	s_cmp_lg_u64 s[22:23], 0
	v_mov_b32_e32 v6, s18
	v_mov_b32_e32 v7, s19
	s_cselect_b64 s[0:1], -1, 0
	s_cmp_lg_u64 s[10:11], 0
	v_ashrrev_i32_e32 v5, 31, v4
	s_cselect_b64 s[2:3], -1, 0
	v_lshl_add_u64 v[8:9], v[0:1], 3, v[6:7]
	s_waitcnt lgkmcnt(0)
	s_cmp_lg_u32 s4, 0
	v_lshlrev_b64 v[6:7], 2, v[4:5]
	v_cndmask_b32_e64 v5, 0, 1, s[0:1]
	v_cmp_ne_u32_e64 s[0:1], 1, v5
	v_cndmask_b32_e64 v5, 0, 1, s[2:3]
	s_cselect_b64 s[4:5], -1, 0
	v_cmp_ne_u32_e64 s[2:3], 1, v5
	v_cndmask_b32_e64 v5, 0, 1, s[4:5]
	s_mov_b64 s[18:19], 0
	v_lshl_add_u64 v[10:11], s[16:17], 0, v[6:7]
	v_lshl_add_u64 v[12:13], s[22:23], 0, v[6:7]
	v_mov_b64_e32 v[6:7], 0
	v_cmp_ne_u32_e64 s[4:5], 1, v5
	s_branch .LBB81_12
.LBB81_11:                              ;   in Loop: Header=BB81_12 Depth=1
	v_add_u32_e32 v4, 1, v4
	v_cmp_ge_i32_e32 vcc, v4, v20
	s_waitcnt vmcnt(0)
	v_fmac_f64_e32 v[6:7], v[14:15], v[18:19]
	v_lshl_add_u64 v[10:11], v[10:11], 0, 4
	s_or_b64 s[18:19], vcc, s[18:19]
	v_lshl_add_u64 v[12:13], v[12:13], 0, 4
	s_andn2_b64 exec, exec, s[18:19]
	s_cbranch_execz .LBB81_18
.LBB81_12:                              ; =>This Inner Loop Header: Depth=1
	global_load_dword v18, v[10:11], off
	s_and_b64 vcc, exec, s[0:1]
	s_waitcnt vmcnt(0)
	v_ashrrev_i32_e32 v19, 31, v18
	v_lshl_add_u64 v[14:15], v[18:19], 2, s[20:21]
	global_load_dword v16, v[14:15], off
	s_cbranch_vccnz .LBB81_17
; %bb.13:                               ;   in Loop: Header=BB81_12 Depth=1
	global_load_dword v5, v[12:13], off
	s_waitcnt vmcnt(0)
	v_cvt_f64_i32_e32 v[14:15], v5
	v_div_scale_f64 v[22:23], s[16:17], v[14:15], v[14:15], 1.0
	v_rcp_f64_e32 v[24:25], v[22:23]
	v_div_scale_f64 v[26:27], vcc, 1.0, v[14:15], 1.0
	v_fma_f64 v[28:29], -v[22:23], v[24:25], 1.0
	v_fmac_f64_e32 v[24:25], v[24:25], v[28:29]
	v_fma_f64 v[28:29], -v[22:23], v[24:25], 1.0
	v_fmac_f64_e32 v[24:25], v[24:25], v[28:29]
	v_mul_f64 v[28:29], v[26:27], v[24:25]
	v_fma_f64 v[22:23], -v[22:23], v[28:29], v[26:27]
	v_div_fmas_f64 v[22:23], v[22:23], v[24:25], v[28:29]
	v_div_fixup_f64 v[14:15], v[22:23], v[14:15], 1.0
	s_and_b64 vcc, exec, s[2:3]
	s_cbranch_vccnz .LBB81_15
.LBB81_14:                              ;   in Loop: Header=BB81_12 Depth=1
	v_mul_lo_u32 v5, v19, s12
	v_mul_lo_u32 v17, v18, s13
	v_mad_u64_u32 v[18:19], s[16:17], v18, s12, 0
	v_add3_u32 v19, v19, v17, v5
	v_lshl_add_u64 v[18:19], v[18:19], 3, s[10:11]
	global_load_dwordx2 v[18:19], v[18:19], off
	s_waitcnt vmcnt(0)
	v_mul_f64 v[14:15], v[14:15], v[18:19]
.LBB81_15:                              ;   in Loop: Header=BB81_12 Depth=1
	s_waitcnt vmcnt(0)
	v_mul_lo_u32 v18, v16, s26
	v_ashrrev_i32_e32 v19, 31, v18
	v_lshl_add_u64 v[18:19], v[18:19], 3, v[8:9]
	global_load_dwordx2 v[18:19], v[18:19], off
	s_and_b64 vcc, exec, s[4:5]
	s_cbranch_vccnz .LBB81_11
; %bb.16:                               ;   in Loop: Header=BB81_12 Depth=1
	v_ashrrev_i32_e32 v17, 31, v16
	v_lshl_add_u64 v[16:17], v[16:17], 2, s[8:9]
	global_load_dword v5, v[16:17], off
	s_waitcnt vmcnt(0)
	v_cvt_f64_i32_e32 v[16:17], v5
	v_div_scale_f64 v[22:23], s[16:17], v[16:17], v[16:17], v[18:19]
	v_rcp_f64_e32 v[24:25], v[22:23]
	v_div_scale_f64 v[26:27], vcc, v[18:19], v[16:17], v[18:19]
	v_fma_f64 v[28:29], -v[22:23], v[24:25], 1.0
	v_fmac_f64_e32 v[24:25], v[24:25], v[28:29]
	v_fma_f64 v[28:29], -v[22:23], v[24:25], 1.0
	v_fmac_f64_e32 v[24:25], v[24:25], v[28:29]
	v_mul_f64 v[28:29], v[26:27], v[24:25]
	v_fma_f64 v[22:23], -v[22:23], v[28:29], v[26:27]
	v_div_fmas_f64 v[22:23], v[22:23], v[24:25], v[28:29]
	v_div_fixup_f64 v[18:19], v[22:23], v[16:17], v[18:19]
	s_branch .LBB81_11
.LBB81_17:                              ;   in Loop: Header=BB81_12 Depth=1
	v_mov_b64_e32 v[14:15], 1.0
	s_and_b64 vcc, exec, s[2:3]
	s_cbranch_vccz .LBB81_14
	s_branch .LBB81_15
.LBB81_18:
	s_or_b64 exec, exec, s[18:19]
.LBB81_19:
	s_or_b64 exec, exec, s[14:15]
	v_mul_lo_u32 v8, v3, s26
	v_mul_lo_u32 v9, v2, s27
	v_mad_u64_u32 v[2:3], s[0:1], v2, s26, 0
	v_mov_b32_e32 v4, s6
	v_mov_b32_e32 v5, s7
	v_add3_u32 v3, v3, v9, v8
	v_lshl_add_u64 v[2:3], v[2:3], 3, v[4:5]
	v_lshl_add_u64 v[0:1], v[0:1], 3, v[2:3]
	global_store_dwordx2 v[0:1], v[6:7], off
.LBB81_20:
	s_endpgm
	.section	.rodata,"a",@progbits
	.p2align	6, 0x0
	.amdhsa_kernel _ZN2at6native12_GLOBAL__N_124compute_grad_weight_bagsIdiEEvPKT0_PKT_S5_S5_lliS5_S8_lS5_PKlPNS_14AccumulateTypeIS6_Lb1EE4typeEl
		.amdhsa_group_segment_fixed_size 0
		.amdhsa_private_segment_fixed_size 0
		.amdhsa_kernarg_size 368
		.amdhsa_user_sgpr_count 2
		.amdhsa_user_sgpr_dispatch_ptr 0
		.amdhsa_user_sgpr_queue_ptr 0
		.amdhsa_user_sgpr_kernarg_segment_ptr 1
		.amdhsa_user_sgpr_dispatch_id 0
		.amdhsa_user_sgpr_kernarg_preload_length 0
		.amdhsa_user_sgpr_kernarg_preload_offset 0
		.amdhsa_user_sgpr_private_segment_size 0
		.amdhsa_uses_dynamic_stack 0
		.amdhsa_enable_private_segment 0
		.amdhsa_system_sgpr_workgroup_id_x 1
		.amdhsa_system_sgpr_workgroup_id_y 0
		.amdhsa_system_sgpr_workgroup_id_z 0
		.amdhsa_system_sgpr_workgroup_info 0
		.amdhsa_system_vgpr_workitem_id 0
		.amdhsa_next_free_vgpr 30
		.amdhsa_next_free_sgpr 28
		.amdhsa_accum_offset 32
		.amdhsa_reserve_vcc 1
		.amdhsa_float_round_mode_32 0
		.amdhsa_float_round_mode_16_64 0
		.amdhsa_float_denorm_mode_32 3
		.amdhsa_float_denorm_mode_16_64 3
		.amdhsa_dx10_clamp 1
		.amdhsa_ieee_mode 1
		.amdhsa_fp16_overflow 0
		.amdhsa_tg_split 0
		.amdhsa_exception_fp_ieee_invalid_op 0
		.amdhsa_exception_fp_denorm_src 0
		.amdhsa_exception_fp_ieee_div_zero 0
		.amdhsa_exception_fp_ieee_overflow 0
		.amdhsa_exception_fp_ieee_underflow 0
		.amdhsa_exception_fp_ieee_inexact 0
		.amdhsa_exception_int_div_zero 0
	.end_amdhsa_kernel
	.section	.text._ZN2at6native12_GLOBAL__N_124compute_grad_weight_bagsIdiEEvPKT0_PKT_S5_S5_lliS5_S8_lS5_PKlPNS_14AccumulateTypeIS6_Lb1EE4typeEl,"axG",@progbits,_ZN2at6native12_GLOBAL__N_124compute_grad_weight_bagsIdiEEvPKT0_PKT_S5_S5_lliS5_S8_lS5_PKlPNS_14AccumulateTypeIS6_Lb1EE4typeEl,comdat
.Lfunc_end81:
	.size	_ZN2at6native12_GLOBAL__N_124compute_grad_weight_bagsIdiEEvPKT0_PKT_S5_S5_lliS5_S8_lS5_PKlPNS_14AccumulateTypeIS6_Lb1EE4typeEl, .Lfunc_end81-_ZN2at6native12_GLOBAL__N_124compute_grad_weight_bagsIdiEEvPKT0_PKT_S5_S5_lliS5_S8_lS5_PKlPNS_14AccumulateTypeIS6_Lb1EE4typeEl
                                        ; -- End function
	.section	.AMDGPU.csdata,"",@progbits
; Kernel info:
; codeLenInByte = 1760
; NumSgprs: 34
; NumVgprs: 30
; NumAgprs: 0
; TotalNumVgprs: 30
; ScratchSize: 0
; MemoryBound: 0
; FloatMode: 240
; IeeeMode: 1
; LDSByteSize: 0 bytes/workgroup (compile time only)
; SGPRBlocks: 4
; VGPRBlocks: 3
; NumSGPRsForWavesPerEU: 34
; NumVGPRsForWavesPerEU: 30
; AccumOffset: 32
; Occupancy: 8
; WaveLimiterHint : 1
; COMPUTE_PGM_RSRC2:SCRATCH_EN: 0
; COMPUTE_PGM_RSRC2:USER_SGPR: 2
; COMPUTE_PGM_RSRC2:TRAP_HANDLER: 0
; COMPUTE_PGM_RSRC2:TGID_X_EN: 1
; COMPUTE_PGM_RSRC2:TGID_Y_EN: 0
; COMPUTE_PGM_RSRC2:TGID_Z_EN: 0
; COMPUTE_PGM_RSRC2:TIDIG_COMP_CNT: 0
; COMPUTE_PGM_RSRC3_GFX90A:ACCUM_OFFSET: 7
; COMPUTE_PGM_RSRC3_GFX90A:TG_SPLIT: 0
	.section	.text._ZN2at6native12_GLOBAL__N_119compute_grad_weightIdiEEvPKT0_PKT_S5_llS5_PKlPNS_14AccumulateTypeIS6_Lb1EE4typeEl,"axG",@progbits,_ZN2at6native12_GLOBAL__N_119compute_grad_weightIdiEEvPKT0_PKT_S5_llS5_PKlPNS_14AccumulateTypeIS6_Lb1EE4typeEl,comdat
	.globl	_ZN2at6native12_GLOBAL__N_119compute_grad_weightIdiEEvPKT0_PKT_S5_llS5_PKlPNS_14AccumulateTypeIS6_Lb1EE4typeEl ; -- Begin function _ZN2at6native12_GLOBAL__N_119compute_grad_weightIdiEEvPKT0_PKT_S5_llS5_PKlPNS_14AccumulateTypeIS6_Lb1EE4typeEl
	.p2align	8
	.type	_ZN2at6native12_GLOBAL__N_119compute_grad_weightIdiEEvPKT0_PKT_S5_llS5_PKlPNS_14AccumulateTypeIS6_Lb1EE4typeEl,@function
_ZN2at6native12_GLOBAL__N_119compute_grad_weightIdiEEvPKT0_PKT_S5_llS5_PKlPNS_14AccumulateTypeIS6_Lb1EE4typeEl: ; @_ZN2at6native12_GLOBAL__N_119compute_grad_weightIdiEEvPKT0_PKT_S5_llS5_PKlPNS_14AccumulateTypeIS6_Lb1EE4typeEl
; %bb.0:
	s_load_dword s3, s[0:1], 0x54
	s_load_dwordx2 s[20:21], s[0:1], 0x40
	s_load_dwordx16 s[4:19], s[0:1], 0x0
	v_mov_b32_e32 v1, 0
	v_mov_b32_e32 v2, s2
	s_waitcnt lgkmcnt(0)
	s_and_b32 s0, s3, 0xffff
	v_mad_u64_u32 v[2:3], s[0:1], s0, v2, v[0:1]
	v_or_b32_e32 v5, s21, v3
	v_mov_b32_e32 v4, v1
	v_cmp_ne_u64_e32 vcc, 0, v[4:5]
                                        ; implicit-def: $vgpr4_vgpr5
	s_and_saveexec_b64 s[0:1], vcc
	s_xor_b64 s[2:3], exec, s[0:1]
	s_cbranch_execz .LBB82_2
; %bb.1:
	s_ashr_i32 s22, s21, 31
	s_add_u32 s0, s20, s22
	s_mov_b32 s23, s22
	s_addc_u32 s1, s21, s22
	s_xor_b64 s[24:25], s[0:1], s[22:23]
	v_cvt_f32_u32_e32 v0, s24
	v_cvt_f32_u32_e32 v4, s25
	s_sub_u32 s0, 0, s24
	s_subb_u32 s1, 0, s25
	v_fmamk_f32 v0, v4, 0x4f800000, v0
	v_rcp_f32_e32 v0, v0
	s_nop 0
	v_mul_f32_e32 v0, 0x5f7ffffc, v0
	v_mul_f32_e32 v4, 0x2f800000, v0
	v_trunc_f32_e32 v4, v4
	v_fmamk_f32 v0, v4, 0xcf800000, v0
	v_cvt_u32_f32_e32 v6, v4
	v_cvt_u32_f32_e32 v7, v0
	v_mul_lo_u32 v0, s0, v6
	v_mul_hi_u32 v5, s0, v7
	v_mul_lo_u32 v4, s1, v7
	v_add_u32_e32 v0, v5, v0
	v_mul_lo_u32 v8, s0, v7
	v_add_u32_e32 v9, v0, v4
	v_mul_hi_u32 v5, v7, v9
	v_mul_lo_u32 v4, v7, v9
	v_mul_hi_u32 v0, v7, v8
	v_lshl_add_u64 v[4:5], v[0:1], 0, v[4:5]
	v_mul_hi_u32 v0, v6, v8
	v_mul_lo_u32 v8, v6, v8
	v_add_co_u32_e32 v4, vcc, v4, v8
	v_mul_hi_u32 v10, v6, v9
	s_nop 0
	v_addc_co_u32_e32 v0, vcc, v5, v0, vcc
	v_mul_lo_u32 v4, v6, v9
	s_nop 0
	v_addc_co_u32_e32 v5, vcc, 0, v10, vcc
	v_lshl_add_u64 v[4:5], v[0:1], 0, v[4:5]
	v_add_co_u32_e32 v7, vcc, v7, v4
	v_mul_hi_u32 v4, s0, v7
	s_nop 0
	v_addc_co_u32_e32 v6, vcc, v6, v5, vcc
	v_mul_lo_u32 v0, s0, v6
	v_add_u32_e32 v0, v4, v0
	v_mul_lo_u32 v4, s1, v7
	v_add_u32_e32 v8, v0, v4
	v_mul_lo_u32 v0, s0, v7
	v_mul_hi_u32 v10, v6, v0
	v_mul_lo_u32 v11, v6, v0
	v_mul_hi_u32 v5, v7, v8
	;; [unrolled: 2-line block ×3, first 2 shown]
	v_lshl_add_u64 v[4:5], v[0:1], 0, v[4:5]
	v_add_co_u32_e32 v0, vcc, v4, v11
	v_mul_hi_u32 v9, v6, v8
	s_nop 0
	v_addc_co_u32_e32 v0, vcc, v5, v10, vcc
	v_mul_lo_u32 v4, v6, v8
	s_nop 0
	v_addc_co_u32_e32 v5, vcc, 0, v9, vcc
	v_lshl_add_u64 v[4:5], v[0:1], 0, v[4:5]
	v_add_co_u32_e32 v10, vcc, v7, v4
	v_ashrrev_i32_e32 v4, 31, v3
	s_nop 0
	v_addc_co_u32_e32 v8, vcc, v6, v5, vcc
	v_mov_b32_e32 v5, v4
	v_lshl_add_u64 v[6:7], v[2:3], 0, v[4:5]
	v_xor_b32_e32 v12, v6, v4
	v_xor_b32_e32 v5, v7, v4
	v_mad_u64_u32 v[6:7], s[0:1], v12, v8, 0
	v_mul_hi_u32 v0, v12, v10
	v_lshl_add_u64 v[6:7], v[0:1], 0, v[6:7]
	v_mad_u64_u32 v[10:11], s[0:1], v5, v10, 0
	v_add_co_u32_e32 v0, vcc, v6, v10
	v_mad_u64_u32 v[8:9], s[0:1], v5, v8, 0
	s_nop 0
	v_addc_co_u32_e32 v0, vcc, v7, v11, vcc
	s_nop 1
	v_addc_co_u32_e32 v9, vcc, 0, v9, vcc
	v_lshl_add_u64 v[0:1], v[0:1], 0, v[8:9]
	v_mul_lo_u32 v8, s25, v0
	v_mul_lo_u32 v9, s24, v1
	v_mad_u64_u32 v[6:7], s[0:1], s24, v0, 0
	v_add3_u32 v10, v7, v9, v8
	v_sub_u32_e32 v7, v5, v10
	v_mov_b32_e32 v8, s25
	v_sub_co_u32_e32 v11, vcc, v12, v6
	s_nop 1
	v_subb_co_u32_e64 v6, s[0:1], v7, v8, vcc
	v_subrev_co_u32_e64 v7, s[0:1], s24, v11
	v_subb_co_u32_e32 v5, vcc, v5, v10, vcc
	s_nop 0
	v_subbrev_co_u32_e64 v6, s[0:1], 0, v6, s[0:1]
	v_cmp_le_u32_e64 s[0:1], s25, v6
	v_cmp_le_u32_e32 vcc, s25, v5
	s_nop 0
	v_cndmask_b32_e64 v8, 0, -1, s[0:1]
	v_cmp_le_u32_e64 s[0:1], s24, v7
	s_nop 1
	v_cndmask_b32_e64 v7, 0, -1, s[0:1]
	v_cmp_eq_u32_e64 s[0:1], s25, v6
	s_nop 1
	v_cndmask_b32_e64 v12, v8, v7, s[0:1]
	v_lshl_add_u64 v[6:7], v[0:1], 0, 2
	v_lshl_add_u64 v[8:9], v[0:1], 0, 1
	v_cmp_ne_u32_e64 s[0:1], 0, v12
	s_nop 1
	v_cndmask_b32_e64 v7, v9, v7, s[0:1]
	v_cndmask_b32_e64 v9, 0, -1, vcc
	v_cmp_le_u32_e32 vcc, s24, v11
	s_nop 1
	v_cndmask_b32_e64 v10, 0, -1, vcc
	v_cmp_eq_u32_e32 vcc, s25, v5
	s_nop 1
	v_cndmask_b32_e32 v5, v9, v10, vcc
	v_cmp_ne_u32_e32 vcc, 0, v5
	v_cndmask_b32_e64 v5, v8, v6, s[0:1]
	s_nop 0
	v_cndmask_b32_e32 v0, v0, v5, vcc
	v_xor_b32_e32 v5, s22, v4
	v_cndmask_b32_e32 v1, v1, v7, vcc
	v_xor_b32_e32 v0, v0, v5
	v_xor_b32_e32 v1, v1, v5
	v_sub_co_u32_e32 v4, vcc, v0, v5
	s_nop 1
	v_subb_co_u32_e32 v5, vcc, v1, v5, vcc
.LBB82_2:
	s_or_saveexec_b64 s[0:1], s[2:3]
	s_load_dwordx2 s[2:3], s[16:17], 0x0
	s_xor_b64 exec, exec, s[0:1]
	s_cbranch_execz .LBB82_4
; %bb.3:
	v_cvt_f32_u32_e32 v0, s20
	s_sub_i32 s11, 0, s20
	v_rcp_iflag_f32_e32 v0, v0
	s_nop 0
	v_mul_f32_e32 v0, 0x4f7ffffe, v0
	v_cvt_u32_f32_e32 v0, v0
	v_mul_lo_u32 v1, s11, v0
	v_mul_hi_u32 v1, v0, v1
	v_add_u32_e32 v0, v0, v1
	v_mul_hi_u32 v0, v2, v0
	v_mul_lo_u32 v1, v0, s20
	v_sub_u32_e32 v1, v2, v1
	v_add_u32_e32 v4, 1, v0
	v_subrev_u32_e32 v5, s20, v1
	v_cmp_le_u32_e32 vcc, s20, v1
	s_nop 1
	v_cndmask_b32_e32 v1, v1, v5, vcc
	v_cndmask_b32_e32 v0, v0, v4, vcc
	v_add_u32_e32 v4, 1, v0
	v_cmp_le_u32_e32 vcc, s20, v1
	v_mov_b32_e32 v5, 0
	s_nop 0
	v_cndmask_b32_e32 v4, v0, v4, vcc
.LBB82_4:
	s_or_b64 exec, exec, s[0:1]
	v_mul_lo_u32 v6, v5, s20
	v_mul_lo_u32 v7, v4, s21
	v_mad_u64_u32 v[0:1], s[0:1], v4, s20, 0
	v_add3_u32 v1, v1, v7, v6
	v_sub_co_u32_e32 v0, vcc, v2, v0
	s_waitcnt lgkmcnt(0)
	v_cmp_gt_i64_e64 s[0:1], s[2:3], v[4:5]
	v_subb_co_u32_e32 v1, vcc, v3, v1, vcc
	v_cmp_gt_i64_e32 vcc, s[12:13], v[0:1]
	s_and_b64 s[0:1], vcc, s[0:1]
	s_and_saveexec_b64 s[16:17], s[0:1]
	s_cbranch_execz .LBB82_17
; %bb.5:
	v_mov_b32_e32 v2, s14
	v_mov_b32_e32 v3, s15
	v_lshl_add_u64 v[6:7], v[4:5], 2, v[2:3]
	global_load_dword v2, v[6:7], off
	s_add_u32 s0, s2, -1
	s_addc_u32 s1, s3, -1
	v_cmp_ne_u64_e32 vcc, s[0:1], v[4:5]
                                        ; implicit-def: $vgpr16
	s_and_saveexec_b64 s[0:1], vcc
	s_xor_b64 s[0:1], exec, s[0:1]
	s_cbranch_execz .LBB82_7
; %bb.6:
	global_load_dword v16, v[6:7], off offset:4
.LBB82_7:
	s_andn2_saveexec_b64 s[0:1], s[0:1]
	s_cbranch_execz .LBB82_9
; %bb.8:
	s_waitcnt vmcnt(0)
	v_mov_b32_e32 v16, s10
.LBB82_9:
	s_or_b64 exec, exec, s[0:1]
	s_waitcnt vmcnt(0)
	v_cmp_lt_i32_e32 vcc, v2, v16
	v_mov_b64_e32 v[6:7], 0
	s_and_saveexec_b64 s[2:3], vcc
	s_cbranch_execz .LBB82_16
; %bb.10:
	s_cmp_lg_u64 s[8:9], 0
	v_mov_b32_e32 v6, s6
	v_mov_b32_e32 v7, s7
	v_ashrrev_i32_e32 v3, 31, v2
	s_cselect_b64 s[0:1], -1, 0
	v_lshl_add_u64 v[8:9], v[0:1], 3, v[6:7]
	v_lshlrev_b64 v[6:7], 2, v[2:3]
	v_cndmask_b32_e64 v3, 0, 1, s[0:1]
	s_mov_b64 s[6:7], 0
	v_lshl_add_u64 v[10:11], s[4:5], 0, v[6:7]
	v_lshl_add_u64 v[12:13], s[8:9], 0, v[6:7]
	v_mov_b64_e32 v[6:7], 0
	v_cmp_ne_u32_e64 s[0:1], 1, v3
	s_branch .LBB82_13
.LBB82_11:                              ;   in Loop: Header=BB82_13 Depth=1
	global_load_dword v14, v[12:13], off
	s_waitcnt vmcnt(0)
	v_cvt_f64_i32_e32 v[14:15], v14
	v_div_scale_f64 v[18:19], s[4:5], v[14:15], v[14:15], 1.0
	v_rcp_f64_e32 v[20:21], v[18:19]
	v_div_scale_f64 v[22:23], vcc, 1.0, v[14:15], 1.0
	v_fma_f64 v[24:25], -v[18:19], v[20:21], 1.0
	v_fmac_f64_e32 v[20:21], v[20:21], v[24:25]
	v_fma_f64 v[24:25], -v[18:19], v[20:21], 1.0
	v_fmac_f64_e32 v[20:21], v[20:21], v[24:25]
	v_mul_f64 v[24:25], v[22:23], v[20:21]
	v_fma_f64 v[18:19], -v[18:19], v[24:25], v[22:23]
	v_div_fmas_f64 v[18:19], v[18:19], v[20:21], v[24:25]
	v_div_fixup_f64 v[14:15], v[18:19], v[14:15], 1.0
.LBB82_12:                              ;   in Loop: Header=BB82_13 Depth=1
	s_waitcnt vmcnt(0)
	v_ashrrev_i32_e32 v17, 31, v3
	v_mul_lo_u32 v20, v3, s13
	v_mul_lo_u32 v17, v17, s12
	v_mad_u64_u32 v[18:19], s[4:5], v3, s12, 0
	v_add3_u32 v19, v19, v20, v17
	v_lshl_add_u64 v[18:19], v[18:19], 3, v[8:9]
	global_load_dwordx2 v[18:19], v[18:19], off
	v_add_u32_e32 v2, 1, v2
	v_cmp_ge_i32_e32 vcc, v2, v16
	v_lshl_add_u64 v[10:11], v[10:11], 0, 4
	s_or_b64 s[6:7], vcc, s[6:7]
	v_lshl_add_u64 v[12:13], v[12:13], 0, 4
	s_waitcnt vmcnt(0)
	v_fmac_f64_e32 v[6:7], v[14:15], v[18:19]
	s_andn2_b64 exec, exec, s[6:7]
	s_cbranch_execz .LBB82_15
.LBB82_13:                              ; =>This Inner Loop Header: Depth=1
	global_load_dword v3, v[10:11], off
	s_and_b64 vcc, exec, s[0:1]
	s_cbranch_vccz .LBB82_11
; %bb.14:                               ;   in Loop: Header=BB82_13 Depth=1
	v_mov_b64_e32 v[14:15], 1.0
	s_branch .LBB82_12
.LBB82_15:
	s_or_b64 exec, exec, s[6:7]
.LBB82_16:
	s_or_b64 exec, exec, s[2:3]
	v_mul_lo_u32 v8, v5, s12
	v_mul_lo_u32 v9, v4, s13
	v_mad_u64_u32 v[4:5], s[0:1], v4, s12, 0
	v_mov_b32_e32 v2, s18
	v_mov_b32_e32 v3, s19
	v_add3_u32 v5, v5, v9, v8
	v_lshl_add_u64 v[2:3], v[4:5], 3, v[2:3]
	v_lshl_add_u64 v[0:1], v[0:1], 3, v[2:3]
	global_store_dwordx2 v[0:1], v[6:7], off
.LBB82_17:
	s_endpgm
	.section	.rodata,"a",@progbits
	.p2align	6, 0x0
	.amdhsa_kernel _ZN2at6native12_GLOBAL__N_119compute_grad_weightIdiEEvPKT0_PKT_S5_llS5_PKlPNS_14AccumulateTypeIS6_Lb1EE4typeEl
		.amdhsa_group_segment_fixed_size 0
		.amdhsa_private_segment_fixed_size 0
		.amdhsa_kernarg_size 328
		.amdhsa_user_sgpr_count 2
		.amdhsa_user_sgpr_dispatch_ptr 0
		.amdhsa_user_sgpr_queue_ptr 0
		.amdhsa_user_sgpr_kernarg_segment_ptr 1
		.amdhsa_user_sgpr_dispatch_id 0
		.amdhsa_user_sgpr_kernarg_preload_length 0
		.amdhsa_user_sgpr_kernarg_preload_offset 0
		.amdhsa_user_sgpr_private_segment_size 0
		.amdhsa_uses_dynamic_stack 0
		.amdhsa_enable_private_segment 0
		.amdhsa_system_sgpr_workgroup_id_x 1
		.amdhsa_system_sgpr_workgroup_id_y 0
		.amdhsa_system_sgpr_workgroup_id_z 0
		.amdhsa_system_sgpr_workgroup_info 0
		.amdhsa_system_vgpr_workitem_id 0
		.amdhsa_next_free_vgpr 26
		.amdhsa_next_free_sgpr 26
		.amdhsa_accum_offset 28
		.amdhsa_reserve_vcc 1
		.amdhsa_float_round_mode_32 0
		.amdhsa_float_round_mode_16_64 0
		.amdhsa_float_denorm_mode_32 3
		.amdhsa_float_denorm_mode_16_64 3
		.amdhsa_dx10_clamp 1
		.amdhsa_ieee_mode 1
		.amdhsa_fp16_overflow 0
		.amdhsa_tg_split 0
		.amdhsa_exception_fp_ieee_invalid_op 0
		.amdhsa_exception_fp_denorm_src 0
		.amdhsa_exception_fp_ieee_div_zero 0
		.amdhsa_exception_fp_ieee_overflow 0
		.amdhsa_exception_fp_ieee_underflow 0
		.amdhsa_exception_fp_ieee_inexact 0
		.amdhsa_exception_int_div_zero 0
	.end_amdhsa_kernel
	.section	.text._ZN2at6native12_GLOBAL__N_119compute_grad_weightIdiEEvPKT0_PKT_S5_llS5_PKlPNS_14AccumulateTypeIS6_Lb1EE4typeEl,"axG",@progbits,_ZN2at6native12_GLOBAL__N_119compute_grad_weightIdiEEvPKT0_PKT_S5_llS5_PKlPNS_14AccumulateTypeIS6_Lb1EE4typeEl,comdat
.Lfunc_end82:
	.size	_ZN2at6native12_GLOBAL__N_119compute_grad_weightIdiEEvPKT0_PKT_S5_llS5_PKlPNS_14AccumulateTypeIS6_Lb1EE4typeEl, .Lfunc_end82-_ZN2at6native12_GLOBAL__N_119compute_grad_weightIdiEEvPKT0_PKT_S5_llS5_PKlPNS_14AccumulateTypeIS6_Lb1EE4typeEl
                                        ; -- End function
	.section	.AMDGPU.csdata,"",@progbits
; Kernel info:
; codeLenInByte = 1480
; NumSgprs: 32
; NumVgprs: 26
; NumAgprs: 0
; TotalNumVgprs: 26
; ScratchSize: 0
; MemoryBound: 0
; FloatMode: 240
; IeeeMode: 1
; LDSByteSize: 0 bytes/workgroup (compile time only)
; SGPRBlocks: 3
; VGPRBlocks: 3
; NumSGPRsForWavesPerEU: 32
; NumVGPRsForWavesPerEU: 26
; AccumOffset: 28
; Occupancy: 8
; WaveLimiterHint : 1
; COMPUTE_PGM_RSRC2:SCRATCH_EN: 0
; COMPUTE_PGM_RSRC2:USER_SGPR: 2
; COMPUTE_PGM_RSRC2:TRAP_HANDLER: 0
; COMPUTE_PGM_RSRC2:TGID_X_EN: 1
; COMPUTE_PGM_RSRC2:TGID_Y_EN: 0
; COMPUTE_PGM_RSRC2:TGID_Z_EN: 0
; COMPUTE_PGM_RSRC2:TIDIG_COMP_CNT: 0
; COMPUTE_PGM_RSRC3_GFX90A:ACCUM_OFFSET: 6
; COMPUTE_PGM_RSRC3_GFX90A:TG_SPLIT: 0
	.section	.text._ZN2at6native12_GLOBAL__N_115sum_and_scatterIdiEEvPKT0_PT_lS5_PKlPKNS_14AccumulateTypeIS6_Lb1EE4typeES5_S9_ll,"axG",@progbits,_ZN2at6native12_GLOBAL__N_115sum_and_scatterIdiEEvPKT0_PT_lS5_PKlPKNS_14AccumulateTypeIS6_Lb1EE4typeES5_S9_ll,comdat
	.globl	_ZN2at6native12_GLOBAL__N_115sum_and_scatterIdiEEvPKT0_PT_lS5_PKlPKNS_14AccumulateTypeIS6_Lb1EE4typeES5_S9_ll ; -- Begin function _ZN2at6native12_GLOBAL__N_115sum_and_scatterIdiEEvPKT0_PT_lS5_PKlPKNS_14AccumulateTypeIS6_Lb1EE4typeES5_S9_ll
	.p2align	8
	.type	_ZN2at6native12_GLOBAL__N_115sum_and_scatterIdiEEvPKT0_PT_lS5_PKlPKNS_14AccumulateTypeIS6_Lb1EE4typeES5_S9_ll,@function
_ZN2at6native12_GLOBAL__N_115sum_and_scatterIdiEEvPKT0_PT_lS5_PKlPKNS_14AccumulateTypeIS6_Lb1EE4typeES5_S9_ll: ; @_ZN2at6native12_GLOBAL__N_115sum_and_scatterIdiEEvPKT0_PT_lS5_PKlPKNS_14AccumulateTypeIS6_Lb1EE4typeES5_S9_ll
; %bb.0:
	s_load_dword s3, s[0:1], 0x5c
	s_load_dwordx4 s[20:23], s[0:1], 0x40
	s_load_dwordx16 s[4:19], s[0:1], 0x0
	v_mov_b32_e32 v1, 0
	v_mov_b32_e32 v2, s2
	s_waitcnt lgkmcnt(0)
	s_and_b32 s0, s3, 0xffff
	v_mad_u64_u32 v[2:3], s[0:1], s0, v2, v[0:1]
	v_or_b32_e32 v5, s23, v3
	v_mov_b32_e32 v4, v1
	v_cmp_ne_u64_e32 vcc, 0, v[4:5]
                                        ; implicit-def: $vgpr4_vgpr5
	s_and_saveexec_b64 s[0:1], vcc
	s_xor_b64 s[2:3], exec, s[0:1]
	s_cbranch_execz .LBB83_2
; %bb.1:
	s_ashr_i32 s24, s23, 31
	s_add_u32 s0, s22, s24
	s_mov_b32 s25, s24
	s_addc_u32 s1, s23, s24
	s_xor_b64 s[26:27], s[0:1], s[24:25]
	v_cvt_f32_u32_e32 v0, s26
	v_cvt_f32_u32_e32 v4, s27
	s_sub_u32 s0, 0, s26
	s_subb_u32 s1, 0, s27
	v_fmamk_f32 v0, v4, 0x4f800000, v0
	v_rcp_f32_e32 v0, v0
	s_nop 0
	v_mul_f32_e32 v0, 0x5f7ffffc, v0
	v_mul_f32_e32 v4, 0x2f800000, v0
	v_trunc_f32_e32 v4, v4
	v_fmamk_f32 v0, v4, 0xcf800000, v0
	v_cvt_u32_f32_e32 v6, v4
	v_cvt_u32_f32_e32 v7, v0
	v_mul_lo_u32 v0, s0, v6
	v_mul_hi_u32 v5, s0, v7
	v_mul_lo_u32 v4, s1, v7
	v_add_u32_e32 v0, v5, v0
	v_mul_lo_u32 v8, s0, v7
	v_add_u32_e32 v9, v0, v4
	v_mul_hi_u32 v5, v7, v9
	v_mul_lo_u32 v4, v7, v9
	v_mul_hi_u32 v0, v7, v8
	v_lshl_add_u64 v[4:5], v[0:1], 0, v[4:5]
	v_mul_hi_u32 v0, v6, v8
	v_mul_lo_u32 v8, v6, v8
	v_add_co_u32_e32 v4, vcc, v4, v8
	v_mul_hi_u32 v10, v6, v9
	s_nop 0
	v_addc_co_u32_e32 v0, vcc, v5, v0, vcc
	v_mul_lo_u32 v4, v6, v9
	s_nop 0
	v_addc_co_u32_e32 v5, vcc, 0, v10, vcc
	v_lshl_add_u64 v[4:5], v[0:1], 0, v[4:5]
	v_add_co_u32_e32 v7, vcc, v7, v4
	v_mul_hi_u32 v4, s0, v7
	s_nop 0
	v_addc_co_u32_e32 v6, vcc, v6, v5, vcc
	v_mul_lo_u32 v0, s0, v6
	v_add_u32_e32 v0, v4, v0
	v_mul_lo_u32 v4, s1, v7
	v_add_u32_e32 v8, v0, v4
	v_mul_lo_u32 v0, s0, v7
	v_mul_hi_u32 v10, v6, v0
	v_mul_lo_u32 v11, v6, v0
	v_mul_hi_u32 v5, v7, v8
	;; [unrolled: 2-line block ×3, first 2 shown]
	v_lshl_add_u64 v[4:5], v[0:1], 0, v[4:5]
	v_add_co_u32_e32 v0, vcc, v4, v11
	v_mul_hi_u32 v9, v6, v8
	s_nop 0
	v_addc_co_u32_e32 v0, vcc, v5, v10, vcc
	v_mul_lo_u32 v4, v6, v8
	s_nop 0
	v_addc_co_u32_e32 v5, vcc, 0, v9, vcc
	v_lshl_add_u64 v[4:5], v[0:1], 0, v[4:5]
	v_add_co_u32_e32 v10, vcc, v7, v4
	v_ashrrev_i32_e32 v4, 31, v3
	s_nop 0
	v_addc_co_u32_e32 v8, vcc, v6, v5, vcc
	v_mov_b32_e32 v5, v4
	v_lshl_add_u64 v[6:7], v[2:3], 0, v[4:5]
	v_xor_b32_e32 v12, v6, v4
	v_xor_b32_e32 v5, v7, v4
	v_mad_u64_u32 v[6:7], s[0:1], v12, v8, 0
	v_mul_hi_u32 v0, v12, v10
	v_lshl_add_u64 v[6:7], v[0:1], 0, v[6:7]
	v_mad_u64_u32 v[10:11], s[0:1], v5, v10, 0
	v_add_co_u32_e32 v0, vcc, v6, v10
	v_mad_u64_u32 v[8:9], s[0:1], v5, v8, 0
	s_nop 0
	v_addc_co_u32_e32 v0, vcc, v7, v11, vcc
	s_nop 1
	v_addc_co_u32_e32 v9, vcc, 0, v9, vcc
	v_lshl_add_u64 v[0:1], v[0:1], 0, v[8:9]
	v_mul_lo_u32 v8, s27, v0
	v_mul_lo_u32 v9, s26, v1
	v_mad_u64_u32 v[6:7], s[0:1], s26, v0, 0
	v_add3_u32 v10, v7, v9, v8
	v_sub_u32_e32 v7, v5, v10
	v_mov_b32_e32 v8, s27
	v_sub_co_u32_e32 v11, vcc, v12, v6
	s_nop 1
	v_subb_co_u32_e64 v6, s[0:1], v7, v8, vcc
	v_subrev_co_u32_e64 v7, s[0:1], s26, v11
	v_subb_co_u32_e32 v5, vcc, v5, v10, vcc
	s_nop 0
	v_subbrev_co_u32_e64 v6, s[0:1], 0, v6, s[0:1]
	v_cmp_le_u32_e64 s[0:1], s27, v6
	v_cmp_le_u32_e32 vcc, s27, v5
	s_nop 0
	v_cndmask_b32_e64 v8, 0, -1, s[0:1]
	v_cmp_le_u32_e64 s[0:1], s26, v7
	s_nop 1
	v_cndmask_b32_e64 v7, 0, -1, s[0:1]
	v_cmp_eq_u32_e64 s[0:1], s27, v6
	s_nop 1
	v_cndmask_b32_e64 v12, v8, v7, s[0:1]
	v_lshl_add_u64 v[6:7], v[0:1], 0, 2
	v_lshl_add_u64 v[8:9], v[0:1], 0, 1
	v_cmp_ne_u32_e64 s[0:1], 0, v12
	s_nop 1
	v_cndmask_b32_e64 v7, v9, v7, s[0:1]
	v_cndmask_b32_e64 v9, 0, -1, vcc
	v_cmp_le_u32_e32 vcc, s26, v11
	s_nop 1
	v_cndmask_b32_e64 v10, 0, -1, vcc
	v_cmp_eq_u32_e32 vcc, s27, v5
	s_nop 1
	v_cndmask_b32_e32 v5, v9, v10, vcc
	v_cmp_ne_u32_e32 vcc, 0, v5
	v_cndmask_b32_e64 v5, v8, v6, s[0:1]
	s_nop 0
	v_cndmask_b32_e32 v0, v0, v5, vcc
	v_xor_b32_e32 v5, s24, v4
	v_cndmask_b32_e32 v1, v1, v7, vcc
	v_xor_b32_e32 v0, v0, v5
	v_xor_b32_e32 v1, v1, v5
	v_sub_co_u32_e32 v4, vcc, v0, v5
	s_nop 1
	v_subb_co_u32_e32 v5, vcc, v1, v5, vcc
.LBB83_2:
	s_or_saveexec_b64 s[0:1], s[2:3]
	s_load_dwordx2 s[2:3], s[12:13], 0x0
	s_xor_b64 exec, exec, s[0:1]
	s_cbranch_execz .LBB83_4
; %bb.3:
	v_cvt_f32_u32_e32 v0, s22
	s_sub_i32 s12, 0, s22
	v_rcp_iflag_f32_e32 v0, v0
	s_nop 0
	v_mul_f32_e32 v0, 0x4f7ffffe, v0
	v_cvt_u32_f32_e32 v0, v0
	v_mul_lo_u32 v1, s12, v0
	v_mul_hi_u32 v1, v0, v1
	v_add_u32_e32 v0, v0, v1
	v_mul_hi_u32 v0, v2, v0
	v_mul_lo_u32 v1, v0, s22
	v_sub_u32_e32 v1, v2, v1
	v_add_u32_e32 v4, 1, v0
	v_subrev_u32_e32 v5, s22, v1
	v_cmp_le_u32_e32 vcc, s22, v1
	s_nop 1
	v_cndmask_b32_e32 v1, v1, v5, vcc
	v_cndmask_b32_e32 v0, v0, v4, vcc
	v_add_u32_e32 v4, 1, v0
	v_cmp_le_u32_e32 vcc, s22, v1
	v_mov_b32_e32 v5, 0
	s_nop 0
	v_cndmask_b32_e32 v4, v0, v4, vcc
.LBB83_4:
	s_or_b64 exec, exec, s[0:1]
	v_mul_lo_u32 v0, v5, s22
	v_mul_lo_u32 v1, v4, s23
	v_mad_u64_u32 v[8:9], s[0:1], v4, s22, 0
	v_add3_u32 v9, v9, v1, v0
	v_sub_co_u32_e32 v0, vcc, v2, v8
	s_waitcnt lgkmcnt(0)
	v_cmp_gt_i64_e64 s[0:1], s[2:3], v[4:5]
	v_subb_co_u32_e32 v1, vcc, v3, v9, vcc
	v_cmp_gt_i64_e32 vcc, s[8:9], v[0:1]
	s_and_b64 s[0:1], vcc, s[0:1]
	s_and_saveexec_b64 s[12:13], s[0:1]
	s_cbranch_execz .LBB83_15
; %bb.5:
	v_mov_b32_e32 v6, s16
	v_mov_b32_e32 v7, s17
	v_lshl_add_u64 v[6:7], v[4:5], 2, v[6:7]
	global_load_dword v10, v[6:7], off
	s_add_u32 s0, s2, -1
	s_addc_u32 s1, s3, -1
	v_cmp_ne_u64_e32 vcc, s[0:1], v[4:5]
                                        ; implicit-def: $vgpr11
	s_and_saveexec_b64 s[0:1], vcc
	s_xor_b64 s[0:1], exec, s[0:1]
	s_cbranch_execz .LBB83_7
; %bb.6:
	global_load_dword v11, v[6:7], off offset:4
.LBB83_7:
	s_andn2_saveexec_b64 s[0:1], s[0:1]
	s_cbranch_execz .LBB83_9
; %bb.8:
	s_load_dwordx2 s[2:3], s[18:19], 0x0
	s_waitcnt vmcnt(0) lgkmcnt(0)
	v_mov_b32_e32 v11, s2
.LBB83_9:
	s_or_b64 exec, exec, s[0:1]
	s_waitcnt vmcnt(0)
	v_cmp_lt_i32_e32 vcc, v10, v11
	v_mov_b64_e32 v[6:7], 0
	s_and_saveexec_b64 s[0:1], vcc
	s_cbranch_execz .LBB83_13
; %bb.10:
	v_ashrrev_i32_e32 v6, 31, v10
	v_mul_lo_u32 v12, s9, v10
	v_mul_lo_u32 v13, s8, v6
	v_mad_u64_u32 v[6:7], s[2:3], s8, v10, 0
	v_add3_u32 v7, v7, v13, v12
	v_lshlrev_b64 v[2:3], 3, v[2:3]
	v_lshl_add_u64 v[2:3], v[6:7], 3, v[2:3]
	v_lshlrev_b64 v[6:7], 3, v[8:9]
	v_sub_co_u32_e32 v2, vcc, v2, v6
	s_lshl_b64 s[12:13], s[8:9], 3
	s_nop 0
	v_subb_co_u32_e32 v3, vcc, v3, v7, vcc
	v_lshl_add_u64 v[2:3], s[14:15], 0, v[2:3]
	s_mov_b64 s[2:3], 0
	v_mov_b64_e32 v[6:7], 0
.LBB83_11:                              ; =>This Inner Loop Header: Depth=1
	global_load_dwordx2 v[8:9], v[2:3], off
	v_add_u32_e32 v10, 1, v10
	v_cmp_ge_i32_e32 vcc, v10, v11
	v_lshl_add_u64 v[2:3], v[2:3], 0, s[12:13]
	s_or_b64 s[2:3], vcc, s[2:3]
	s_waitcnt vmcnt(0)
	v_add_f64 v[6:7], v[6:7], v[8:9]
	s_andn2_b64 exec, exec, s[2:3]
	s_cbranch_execnz .LBB83_11
; %bb.12:
	s_or_b64 exec, exec, s[2:3]
.LBB83_13:
	s_or_b64 exec, exec, s[0:1]
	v_mov_b32_e32 v2, s10
	v_mov_b32_e32 v3, s11
	v_lshl_add_u64 v[2:3], v[4:5], 2, v[2:3]
	global_load_dword v2, v[2:3], off
	v_mov_b32_e32 v4, s4
	v_mov_b32_e32 v5, s5
	s_waitcnt vmcnt(0)
	v_ashrrev_i32_e32 v3, 31, v2
	v_lshl_add_u64 v[2:3], v[2:3], 2, v[4:5]
	global_load_dword v2, v[2:3], off
	s_waitcnt vmcnt(0)
	v_ashrrev_i32_e32 v3, 31, v2
	v_cmp_ne_u64_e32 vcc, s[20:21], v[2:3]
	s_and_b64 exec, exec, vcc
	s_cbranch_execz .LBB83_15
; %bb.14:
	v_mul_lo_u32 v8, v3, s8
	v_mul_lo_u32 v9, v2, s9
	v_mad_u64_u32 v[2:3], s[0:1], v2, s8, 0
	v_mov_b32_e32 v4, s6
	v_mov_b32_e32 v5, s7
	v_add3_u32 v3, v3, v9, v8
	v_lshl_add_u64 v[2:3], v[2:3], 3, v[4:5]
	v_lshl_add_u64 v[0:1], v[0:1], 3, v[2:3]
	global_store_dwordx2 v[0:1], v[6:7], off
.LBB83_15:
	s_endpgm
	.section	.rodata,"a",@progbits
	.p2align	6, 0x0
	.amdhsa_kernel _ZN2at6native12_GLOBAL__N_115sum_and_scatterIdiEEvPKT0_PT_lS5_PKlPKNS_14AccumulateTypeIS6_Lb1EE4typeES5_S9_ll
		.amdhsa_group_segment_fixed_size 0
		.amdhsa_private_segment_fixed_size 0
		.amdhsa_kernarg_size 336
		.amdhsa_user_sgpr_count 2
		.amdhsa_user_sgpr_dispatch_ptr 0
		.amdhsa_user_sgpr_queue_ptr 0
		.amdhsa_user_sgpr_kernarg_segment_ptr 1
		.amdhsa_user_sgpr_dispatch_id 0
		.amdhsa_user_sgpr_kernarg_preload_length 0
		.amdhsa_user_sgpr_kernarg_preload_offset 0
		.amdhsa_user_sgpr_private_segment_size 0
		.amdhsa_uses_dynamic_stack 0
		.amdhsa_enable_private_segment 0
		.amdhsa_system_sgpr_workgroup_id_x 1
		.amdhsa_system_sgpr_workgroup_id_y 0
		.amdhsa_system_sgpr_workgroup_id_z 0
		.amdhsa_system_sgpr_workgroup_info 0
		.amdhsa_system_vgpr_workitem_id 0
		.amdhsa_next_free_vgpr 14
		.amdhsa_next_free_sgpr 28
		.amdhsa_accum_offset 16
		.amdhsa_reserve_vcc 1
		.amdhsa_float_round_mode_32 0
		.amdhsa_float_round_mode_16_64 0
		.amdhsa_float_denorm_mode_32 3
		.amdhsa_float_denorm_mode_16_64 3
		.amdhsa_dx10_clamp 1
		.amdhsa_ieee_mode 1
		.amdhsa_fp16_overflow 0
		.amdhsa_tg_split 0
		.amdhsa_exception_fp_ieee_invalid_op 0
		.amdhsa_exception_fp_denorm_src 0
		.amdhsa_exception_fp_ieee_div_zero 0
		.amdhsa_exception_fp_ieee_overflow 0
		.amdhsa_exception_fp_ieee_underflow 0
		.amdhsa_exception_fp_ieee_inexact 0
		.amdhsa_exception_int_div_zero 0
	.end_amdhsa_kernel
	.section	.text._ZN2at6native12_GLOBAL__N_115sum_and_scatterIdiEEvPKT0_PT_lS5_PKlPKNS_14AccumulateTypeIS6_Lb1EE4typeES5_S9_ll,"axG",@progbits,_ZN2at6native12_GLOBAL__N_115sum_and_scatterIdiEEvPKT0_PT_lS5_PKlPKNS_14AccumulateTypeIS6_Lb1EE4typeES5_S9_ll,comdat
.Lfunc_end83:
	.size	_ZN2at6native12_GLOBAL__N_115sum_and_scatterIdiEEvPKT0_PT_lS5_PKlPKNS_14AccumulateTypeIS6_Lb1EE4typeES5_S9_ll, .Lfunc_end83-_ZN2at6native12_GLOBAL__N_115sum_and_scatterIdiEEvPKT0_PT_lS5_PKlPKNS_14AccumulateTypeIS6_Lb1EE4typeES5_S9_ll
                                        ; -- End function
	.section	.AMDGPU.csdata,"",@progbits
; Kernel info:
; codeLenInByte = 1408
; NumSgprs: 34
; NumVgprs: 14
; NumAgprs: 0
; TotalNumVgprs: 14
; ScratchSize: 0
; MemoryBound: 0
; FloatMode: 240
; IeeeMode: 1
; LDSByteSize: 0 bytes/workgroup (compile time only)
; SGPRBlocks: 4
; VGPRBlocks: 1
; NumSGPRsForWavesPerEU: 34
; NumVGPRsForWavesPerEU: 14
; AccumOffset: 16
; Occupancy: 8
; WaveLimiterHint : 1
; COMPUTE_PGM_RSRC2:SCRATCH_EN: 0
; COMPUTE_PGM_RSRC2:USER_SGPR: 2
; COMPUTE_PGM_RSRC2:TRAP_HANDLER: 0
; COMPUTE_PGM_RSRC2:TGID_X_EN: 1
; COMPUTE_PGM_RSRC2:TGID_Y_EN: 0
; COMPUTE_PGM_RSRC2:TGID_Z_EN: 0
; COMPUTE_PGM_RSRC2:TIDIG_COMP_CNT: 0
; COMPUTE_PGM_RSRC3_GFX90A:ACCUM_OFFSET: 3
; COMPUTE_PGM_RSRC3_GFX90A:TG_SPLIT: 0
	.section	.text._ZN2at6native12_GLOBAL__N_137compute_grad_weight_atomic_accumulateIffiEEvPKT1_PKT_S5_llS5_PKlS5_S5_S5_PT0_ll,"axG",@progbits,_ZN2at6native12_GLOBAL__N_137compute_grad_weight_atomic_accumulateIffiEEvPKT1_PKT_S5_llS5_PKlS5_S5_S5_PT0_ll,comdat
	.globl	_ZN2at6native12_GLOBAL__N_137compute_grad_weight_atomic_accumulateIffiEEvPKT1_PKT_S5_llS5_PKlS5_S5_S5_PT0_ll ; -- Begin function _ZN2at6native12_GLOBAL__N_137compute_grad_weight_atomic_accumulateIffiEEvPKT1_PKT_S5_llS5_PKlS5_S5_S5_PT0_ll
	.p2align	8
	.type	_ZN2at6native12_GLOBAL__N_137compute_grad_weight_atomic_accumulateIffiEEvPKT1_PKT_S5_llS5_PKlS5_S5_S5_PT0_ll,@function
_ZN2at6native12_GLOBAL__N_137compute_grad_weight_atomic_accumulateIffiEEvPKT1_PKT_S5_llS5_PKlS5_S5_S5_PT0_ll: ; @_ZN2at6native12_GLOBAL__N_137compute_grad_weight_atomic_accumulateIffiEEvPKT1_PKT_S5_llS5_PKlS5_S5_S5_PT0_ll
; %bb.0:
	s_load_dword s3, s[0:1], 0x74
	s_load_dwordx2 s[20:21], s[0:1], 0x60
	v_mov_b32_e32 v4, 0
	s_waitcnt lgkmcnt(0)
	s_and_b32 s3, s3, 0xffff
	s_mul_i32 s2, s2, s3
	v_add_u32_e32 v2, s2, v0
	v_ashrrev_i32_e32 v3, 31, v2
	v_or_b32_e32 v5, s21, v3
	v_cmp_ne_u64_e32 vcc, 0, v[4:5]
                                        ; implicit-def: $vgpr0_vgpr1
	s_and_saveexec_b64 s[2:3], vcc
	s_xor_b64 s[4:5], exec, s[2:3]
	s_cbranch_execz .LBB84_2
; %bb.1:
	s_ashr_i32 s6, s21, 31
	s_add_u32 s2, s20, s6
	s_mov_b32 s7, s6
	s_addc_u32 s3, s21, s6
	s_xor_b64 s[8:9], s[2:3], s[6:7]
	v_cvt_f32_u32_e32 v0, s8
	v_cvt_f32_u32_e32 v1, s9
	s_sub_u32 s2, 0, s8
	s_subb_u32 s3, 0, s9
	v_mov_b32_e32 v7, v4
	v_fmamk_f32 v0, v1, 0x4f800000, v0
	v_rcp_f32_e32 v0, v0
	s_nop 0
	v_mul_f32_e32 v0, 0x5f7ffffc, v0
	v_mul_f32_e32 v1, 0x2f800000, v0
	v_trunc_f32_e32 v1, v1
	v_fmamk_f32 v0, v1, 0xcf800000, v0
	v_cvt_u32_f32_e32 v5, v1
	v_cvt_u32_f32_e32 v8, v0
	v_mul_lo_u32 v0, s2, v5
	v_mul_hi_u32 v6, s2, v8
	v_mul_lo_u32 v1, s3, v8
	v_add_u32_e32 v0, v6, v0
	v_mul_lo_u32 v9, s2, v8
	v_add_u32_e32 v10, v0, v1
	v_mul_hi_u32 v1, v8, v10
	v_mul_lo_u32 v0, v8, v10
	v_mul_hi_u32 v6, v8, v9
	v_lshl_add_u64 v[0:1], v[6:7], 0, v[0:1]
	v_mul_hi_u32 v7, v5, v9
	v_mul_lo_u32 v9, v5, v9
	v_add_co_u32_e32 v0, vcc, v0, v9
	v_mul_hi_u32 v6, v5, v10
	s_nop 0
	v_addc_co_u32_e32 v0, vcc, v1, v7, vcc
	v_mov_b32_e32 v1, v4
	s_nop 0
	v_addc_co_u32_e32 v7, vcc, 0, v6, vcc
	v_mul_lo_u32 v6, v5, v10
	v_lshl_add_u64 v[0:1], v[0:1], 0, v[6:7]
	v_add_co_u32_e32 v8, vcc, v8, v0
	v_mul_lo_u32 v6, s2, v8
	s_nop 0
	v_addc_co_u32_e32 v5, vcc, v5, v1, vcc
	v_mul_lo_u32 v0, s2, v5
	v_mul_hi_u32 v1, s2, v8
	v_add_u32_e32 v0, v1, v0
	v_mul_lo_u32 v1, s3, v8
	v_add_u32_e32 v9, v0, v1
	v_mul_hi_u32 v11, v5, v6
	v_mul_lo_u32 v12, v5, v6
	v_mul_hi_u32 v1, v8, v9
	v_mul_lo_u32 v0, v8, v9
	v_mul_hi_u32 v6, v8, v6
	v_mov_b32_e32 v7, v4
	v_lshl_add_u64 v[0:1], v[6:7], 0, v[0:1]
	v_add_co_u32_e32 v0, vcc, v0, v12
	v_mul_hi_u32 v10, v5, v9
	s_nop 0
	v_addc_co_u32_e32 v0, vcc, v1, v11, vcc
	v_mul_lo_u32 v6, v5, v9
	s_nop 0
	v_addc_co_u32_e32 v7, vcc, 0, v10, vcc
	v_mov_b32_e32 v1, v4
	v_lshl_add_u64 v[0:1], v[0:1], 0, v[6:7]
	v_add_co_u32_e32 v10, vcc, v8, v0
	v_mov_b32_e32 v0, v3
	s_nop 0
	v_addc_co_u32_e32 v5, vcc, v5, v1, vcc
	v_mov_b32_e32 v1, v3
	v_lshl_add_u64 v[6:7], v[2:3], 0, v[0:1]
	v_xor_b32_e32 v13, v6, v0
	v_xor_b32_e32 v12, v7, v1
	v_mad_u64_u32 v[6:7], s[2:3], v13, v5, 0
	v_mul_hi_u32 v8, v13, v10
	v_mov_b32_e32 v9, v4
	v_lshl_add_u64 v[6:7], v[8:9], 0, v[6:7]
	v_mad_u64_u32 v[10:11], s[2:3], v12, v10, 0
	v_mad_u64_u32 v[8:9], s[2:3], v12, v5, 0
	v_add_co_u32_e32 v5, vcc, v6, v10
	v_xor_b32_e32 v0, s6, v0
	s_nop 0
	v_addc_co_u32_e32 v6, vcc, v7, v11, vcc
	v_mov_b32_e32 v7, v4
	s_nop 0
	v_addc_co_u32_e32 v9, vcc, 0, v9, vcc
	v_lshl_add_u64 v[4:5], v[6:7], 0, v[8:9]
	v_mul_lo_u32 v8, s9, v4
	v_mul_lo_u32 v9, s8, v5
	v_mad_u64_u32 v[6:7], s[2:3], s8, v4, 0
	v_add3_u32 v10, v7, v9, v8
	v_sub_u32_e32 v7, v12, v10
	v_mov_b32_e32 v8, s9
	v_sub_co_u32_e32 v11, vcc, v13, v6
	v_xor_b32_e32 v1, s6, v1
	s_nop 0
	v_subb_co_u32_e64 v6, s[2:3], v7, v8, vcc
	v_subrev_co_u32_e64 v7, s[2:3], s8, v11
	s_nop 1
	v_subbrev_co_u32_e64 v6, s[2:3], 0, v6, s[2:3]
	v_cmp_le_u32_e64 s[2:3], s9, v6
	s_nop 1
	v_cndmask_b32_e64 v8, 0, -1, s[2:3]
	v_cmp_le_u32_e64 s[2:3], s8, v7
	s_nop 1
	v_cndmask_b32_e64 v7, 0, -1, s[2:3]
	v_cmp_eq_u32_e64 s[2:3], s9, v6
	s_nop 1
	v_cndmask_b32_e64 v13, v8, v7, s[2:3]
	v_lshl_add_u64 v[6:7], v[4:5], 0, 2
	v_lshl_add_u64 v[8:9], v[4:5], 0, 1
	v_cmp_ne_u32_e64 s[2:3], 0, v13
	s_nop 1
	v_cndmask_b32_e64 v7, v9, v7, s[2:3]
	v_subb_co_u32_e32 v9, vcc, v12, v10, vcc
	v_cmp_le_u32_e32 vcc, s9, v9
	v_cndmask_b32_e64 v6, v8, v6, s[2:3]
	s_nop 0
	v_cndmask_b32_e64 v10, 0, -1, vcc
	v_cmp_le_u32_e32 vcc, s8, v11
	s_nop 1
	v_cndmask_b32_e64 v11, 0, -1, vcc
	v_cmp_eq_u32_e32 vcc, s9, v9
	s_nop 1
	v_cndmask_b32_e32 v9, v10, v11, vcc
	v_cmp_ne_u32_e32 vcc, 0, v9
	s_nop 1
	v_cndmask_b32_e32 v4, v4, v6, vcc
	v_cndmask_b32_e32 v5, v5, v7, vcc
	v_xor_b32_e32 v4, v4, v0
	v_xor_b32_e32 v5, v5, v1
	v_sub_co_u32_e32 v0, vcc, v4, v0
	s_nop 1
	v_subb_co_u32_e32 v1, vcc, v5, v1, vcc
.LBB84_2:
	s_or_saveexec_b64 s[2:3], s[4:5]
	s_load_dwordx16 s[4:19], s[0:1], 0x0
	s_xor_b64 exec, exec, s[2:3]
	s_cbranch_execz .LBB84_4
; %bb.3:
	v_cvt_f32_u32_e32 v0, s20
	s_waitcnt lgkmcnt(0)
	s_sub_i32 s11, 0, s20
	v_rcp_iflag_f32_e32 v0, v0
	s_nop 0
	v_mul_f32_e32 v0, 0x4f7ffffe, v0
	v_cvt_u32_f32_e32 v0, v0
	v_mul_lo_u32 v1, s11, v0
	v_mul_hi_u32 v1, v0, v1
	v_add_u32_e32 v0, v0, v1
	v_mul_hi_u32 v0, v2, v0
	v_mul_lo_u32 v1, v0, s20
	v_sub_u32_e32 v1, v2, v1
	v_add_u32_e32 v4, 1, v0
	v_subrev_u32_e32 v5, s20, v1
	v_cmp_le_u32_e32 vcc, s20, v1
	s_nop 1
	v_cndmask_b32_e32 v1, v1, v5, vcc
	v_cndmask_b32_e32 v0, v0, v4, vcc
	v_add_u32_e32 v4, 1, v0
	v_cmp_le_u32_e32 vcc, s20, v1
	v_mov_b32_e32 v1, 0
	s_nop 0
	v_cndmask_b32_e32 v0, v0, v4, vcc
.LBB84_4:
	s_or_b64 exec, exec, s[2:3]
	v_mul_lo_u32 v1, v1, s20
	v_mul_lo_u32 v6, v0, s21
	v_mad_u64_u32 v[4:5], s[2:3], v0, s20, 0
	v_add3_u32 v1, v5, v6, v1
	v_sub_co_u32_e32 v2, vcc, v2, v4
	s_nop 1
	v_subb_co_u32_e32 v3, vcc, v3, v1, vcc
	s_waitcnt lgkmcnt(0)
	v_cmp_gt_i64_e32 vcc, s[12:13], v[2:3]
	s_and_saveexec_b64 s[2:3], vcc
	s_cbranch_execz .LBB84_19
; %bb.5:
	s_load_dwordx2 s[2:3], s[16:17], 0x0
	v_ashrrev_i32_e32 v1, 31, v0
	s_waitcnt lgkmcnt(0)
	v_cmp_gt_i64_e32 vcc, s[2:3], v[0:1]
	s_and_b64 exec, exec, vcc
	s_cbranch_execz .LBB84_19
; %bb.6:
	v_lshl_add_u64 v[4:5], v[0:1], 2, s[14:15]
	global_load_dword v4, v[4:5], off
	s_add_u32 s2, s2, -1
	s_addc_u32 s3, s3, -1
	v_cmp_ne_u64_e32 vcc, s[2:3], v[0:1]
                                        ; implicit-def: $vgpr12
	s_and_saveexec_b64 s[2:3], vcc
	s_xor_b64 s[2:3], exec, s[2:3]
	s_cbranch_execz .LBB84_8
; %bb.7:
	s_mov_b32 s16, 0
	v_mov_b32_e32 v6, 0
	v_mov_b32_e32 v7, v0
	s_mov_b32 s17, 1
	v_lshl_add_u64 v[6:7], v[6:7], 0, s[16:17]
	v_ashrrev_i64 v[6:7], 30, v[6:7]
	v_lshl_add_u64 v[6:7], s[14:15], 0, v[6:7]
	global_load_dword v12, v[6:7], off
.LBB84_8:
	s_or_saveexec_b64 s[2:3], s[2:3]
	s_load_dwordx8 s[20:27], s[0:1], 0x40
	s_xor_b64 exec, exec, s[2:3]
	s_cbranch_execz .LBB84_10
; %bb.9:
	s_waitcnt vmcnt(0)
	v_mov_b32_e32 v12, s10
.LBB84_10:
	s_or_b64 exec, exec, s[2:3]
	s_waitcnt vmcnt(0)
	v_cmp_lt_i32_e32 vcc, v4, v12
	v_mov_b32_e32 v5, 0
	s_and_saveexec_b64 s[2:3], vcc
	s_cbranch_execz .LBB84_17
; %bb.11:
	s_cmp_lg_u64 s[8:9], 0
	v_ashrrev_i32_e32 v5, 31, v4
	s_cselect_b64 s[0:1], -1, 0
	v_mov_b32_e32 v6, s6
	v_mov_b32_e32 v7, s7
	v_lshlrev_b64 v[10:11], 2, v[4:5]
	v_cndmask_b32_e64 v13, 0, 1, s[0:1]
	v_lshl_add_u64 v[6:7], v[2:3], 2, v[6:7]
	s_mov_b64 s[6:7], 0
	v_lshl_add_u64 v[8:9], s[4:5], 0, v[10:11]
	v_lshl_add_u64 v[10:11], s[8:9], 0, v[10:11]
	v_mov_b32_e32 v5, 0
	v_cmp_ne_u32_e64 s[0:1], 1, v13
	s_branch .LBB84_14
.LBB84_12:                              ;   in Loop: Header=BB84_14 Depth=1
	global_load_dword v14, v[10:11], off
	s_waitcnt vmcnt(0)
	v_cvt_f32_i32_e32 v14, v14
	v_div_scale_f32 v15, s[4:5], v14, v14, 1.0
	v_rcp_f32_e32 v16, v15
	v_div_scale_f32 v17, vcc, 1.0, v14, 1.0
	v_fma_f32 v18, -v15, v16, 1.0
	v_fmac_f32_e32 v16, v18, v16
	v_mul_f32_e32 v18, v17, v16
	v_fma_f32 v19, -v15, v18, v17
	v_fmac_f32_e32 v18, v19, v16
	v_fma_f32 v15, -v15, v18, v17
	v_div_fmas_f32 v15, v15, v16, v18
	v_div_fixup_f32 v14, v15, v14, 1.0
.LBB84_13:                              ;   in Loop: Header=BB84_14 Depth=1
	s_waitcnt vmcnt(0)
	v_ashrrev_i32_e32 v15, 31, v13
	v_mul_lo_u32 v18, v13, s13
	v_mul_lo_u32 v15, v15, s12
	v_mad_u64_u32 v[16:17], s[4:5], v13, s12, 0
	v_add3_u32 v17, v17, v18, v15
	v_lshl_add_u64 v[16:17], v[16:17], 2, v[6:7]
	global_load_dword v13, v[16:17], off
	v_add_u32_e32 v4, 1, v4
	v_cmp_ge_i32_e32 vcc, v4, v12
	v_lshl_add_u64 v[8:9], v[8:9], 0, 4
	s_or_b64 s[6:7], vcc, s[6:7]
	v_lshl_add_u64 v[10:11], v[10:11], 0, 4
	s_waitcnt vmcnt(0)
	v_fmac_f32_e32 v5, v14, v13
	s_andn2_b64 exec, exec, s[6:7]
	s_cbranch_execz .LBB84_16
.LBB84_14:                              ; =>This Inner Loop Header: Depth=1
	global_load_dword v13, v[8:9], off
	s_and_b64 vcc, exec, s[0:1]
	s_cbranch_vccz .LBB84_12
; %bb.15:                               ;   in Loop: Header=BB84_14 Depth=1
	v_mov_b32_e32 v14, 1.0
	s_branch .LBB84_13
.LBB84_16:
	s_or_b64 exec, exec, s[6:7]
.LBB84_17:
	s_or_b64 exec, exec, s[2:3]
	s_waitcnt lgkmcnt(0)
	v_mov_b32_e32 v6, s20
	v_mov_b32_e32 v7, s21
	v_lshl_add_u64 v[0:1], v[0:1], 2, v[6:7]
	global_load_dword v0, v[0:1], off
	v_mov_b32_e32 v6, s22
	v_mov_b32_e32 v7, s23
	s_waitcnt vmcnt(0)
	v_ashrrev_i32_e32 v1, 31, v0
	v_lshl_add_u64 v[0:1], v[0:1], 2, v[6:7]
	global_load_dword v0, v[0:1], off
	v_mov_b32_e32 v6, s18
	v_mov_b32_e32 v7, s19
	s_waitcnt vmcnt(0)
	v_ashrrev_i32_e32 v1, 31, v0
	v_lshl_add_u64 v[0:1], v[0:1], 2, v[6:7]
	global_load_dword v0, v[0:1], off
	s_waitcnt vmcnt(0)
	v_ashrrev_i32_e32 v1, 31, v0
	v_cmp_ne_u64_e32 vcc, s[26:27], v[0:1]
	s_and_b64 exec, exec, vcc
	s_cbranch_execz .LBB84_19
; %bb.18:
	v_mul_lo_u32 v4, v1, s12
	v_mul_lo_u32 v8, v0, s13
	v_mad_u64_u32 v[0:1], s[0:1], v0, s12, 0
	v_mov_b32_e32 v6, s24
	v_mov_b32_e32 v7, s25
	v_add3_u32 v1, v1, v8, v4
	v_lshl_add_u64 v[0:1], v[0:1], 2, v[6:7]
	v_lshl_add_u64 v[0:1], v[2:3], 2, v[0:1]
	global_atomic_add_f32 v[0:1], v5, off
.LBB84_19:
	s_endpgm
	.section	.rodata,"a",@progbits
	.p2align	6, 0x0
	.amdhsa_kernel _ZN2at6native12_GLOBAL__N_137compute_grad_weight_atomic_accumulateIffiEEvPKT1_PKT_S5_llS5_PKlS5_S5_S5_PT0_ll
		.amdhsa_group_segment_fixed_size 0
		.amdhsa_private_segment_fixed_size 0
		.amdhsa_kernarg_size 360
		.amdhsa_user_sgpr_count 2
		.amdhsa_user_sgpr_dispatch_ptr 0
		.amdhsa_user_sgpr_queue_ptr 0
		.amdhsa_user_sgpr_kernarg_segment_ptr 1
		.amdhsa_user_sgpr_dispatch_id 0
		.amdhsa_user_sgpr_kernarg_preload_length 0
		.amdhsa_user_sgpr_kernarg_preload_offset 0
		.amdhsa_user_sgpr_private_segment_size 0
		.amdhsa_uses_dynamic_stack 0
		.amdhsa_enable_private_segment 0
		.amdhsa_system_sgpr_workgroup_id_x 1
		.amdhsa_system_sgpr_workgroup_id_y 0
		.amdhsa_system_sgpr_workgroup_id_z 0
		.amdhsa_system_sgpr_workgroup_info 0
		.amdhsa_system_vgpr_workitem_id 0
		.amdhsa_next_free_vgpr 20
		.amdhsa_next_free_sgpr 28
		.amdhsa_accum_offset 20
		.amdhsa_reserve_vcc 1
		.amdhsa_float_round_mode_32 0
		.amdhsa_float_round_mode_16_64 0
		.amdhsa_float_denorm_mode_32 3
		.amdhsa_float_denorm_mode_16_64 3
		.amdhsa_dx10_clamp 1
		.amdhsa_ieee_mode 1
		.amdhsa_fp16_overflow 0
		.amdhsa_tg_split 0
		.amdhsa_exception_fp_ieee_invalid_op 0
		.amdhsa_exception_fp_denorm_src 0
		.amdhsa_exception_fp_ieee_div_zero 0
		.amdhsa_exception_fp_ieee_overflow 0
		.amdhsa_exception_fp_ieee_underflow 0
		.amdhsa_exception_fp_ieee_inexact 0
		.amdhsa_exception_int_div_zero 0
	.end_amdhsa_kernel
	.section	.text._ZN2at6native12_GLOBAL__N_137compute_grad_weight_atomic_accumulateIffiEEvPKT1_PKT_S5_llS5_PKlS5_S5_S5_PT0_ll,"axG",@progbits,_ZN2at6native12_GLOBAL__N_137compute_grad_weight_atomic_accumulateIffiEEvPKT1_PKT_S5_llS5_PKlS5_S5_S5_PT0_ll,comdat
.Lfunc_end84:
	.size	_ZN2at6native12_GLOBAL__N_137compute_grad_weight_atomic_accumulateIffiEEvPKT1_PKT_S5_llS5_PKlS5_S5_S5_PT0_ll, .Lfunc_end84-_ZN2at6native12_GLOBAL__N_137compute_grad_weight_atomic_accumulateIffiEEvPKT1_PKT_S5_llS5_PKlS5_S5_S5_PT0_ll
                                        ; -- End function
	.section	.AMDGPU.csdata,"",@progbits
; Kernel info:
; codeLenInByte = 1676
; NumSgprs: 34
; NumVgprs: 20
; NumAgprs: 0
; TotalNumVgprs: 20
; ScratchSize: 0
; MemoryBound: 0
; FloatMode: 240
; IeeeMode: 1
; LDSByteSize: 0 bytes/workgroup (compile time only)
; SGPRBlocks: 4
; VGPRBlocks: 2
; NumSGPRsForWavesPerEU: 34
; NumVGPRsForWavesPerEU: 20
; AccumOffset: 20
; Occupancy: 8
; WaveLimiterHint : 1
; COMPUTE_PGM_RSRC2:SCRATCH_EN: 0
; COMPUTE_PGM_RSRC2:USER_SGPR: 2
; COMPUTE_PGM_RSRC2:TRAP_HANDLER: 0
; COMPUTE_PGM_RSRC2:TGID_X_EN: 1
; COMPUTE_PGM_RSRC2:TGID_Y_EN: 0
; COMPUTE_PGM_RSRC2:TGID_Z_EN: 0
; COMPUTE_PGM_RSRC2:TIDIG_COMP_CNT: 0
; COMPUTE_PGM_RSRC3_GFX90A:ACCUM_OFFSET: 4
; COMPUTE_PGM_RSRC3_GFX90A:TG_SPLIT: 0
	.section	.text._ZN2at6native12_GLOBAL__N_124compute_grad_weight_bagsIfiEEvPKT0_PKT_S5_S5_lliS5_S8_lS5_PKlPNS_14AccumulateTypeIS6_Lb1EE4typeEl,"axG",@progbits,_ZN2at6native12_GLOBAL__N_124compute_grad_weight_bagsIfiEEvPKT0_PKT_S5_S5_lliS5_S8_lS5_PKlPNS_14AccumulateTypeIS6_Lb1EE4typeEl,comdat
	.globl	_ZN2at6native12_GLOBAL__N_124compute_grad_weight_bagsIfiEEvPKT0_PKT_S5_S5_lliS5_S8_lS5_PKlPNS_14AccumulateTypeIS6_Lb1EE4typeEl ; -- Begin function _ZN2at6native12_GLOBAL__N_124compute_grad_weight_bagsIfiEEvPKT0_PKT_S5_S5_lliS5_S8_lS5_PKlPNS_14AccumulateTypeIS6_Lb1EE4typeEl
	.p2align	8
	.type	_ZN2at6native12_GLOBAL__N_124compute_grad_weight_bagsIfiEEvPKT0_PKT_S5_S5_lliS5_S8_lS5_PKlPNS_14AccumulateTypeIS6_Lb1EE4typeEl,@function
_ZN2at6native12_GLOBAL__N_124compute_grad_weight_bagsIfiEEvPKT0_PKT_S5_S5_lliS5_S8_lS5_PKlPNS_14AccumulateTypeIS6_Lb1EE4typeEl: ; @_ZN2at6native12_GLOBAL__N_124compute_grad_weight_bagsIfiEEvPKT0_PKT_S5_S5_lliS5_S8_lS5_PKlPNS_14AccumulateTypeIS6_Lb1EE4typeEl
; %bb.0:
	s_load_dword s3, s[0:1], 0x7c
	s_load_dwordx4 s[4:7], s[0:1], 0x58
	s_load_dwordx2 s[8:9], s[0:1], 0x68
	v_mov_b32_e32 v1, 0
	v_mov_b32_e32 v2, s2
	s_waitcnt lgkmcnt(0)
	s_and_b32 s3, s3, 0xffff
	v_mad_u64_u32 v[4:5], s[2:3], s3, v2, v[0:1]
	v_or_b32_e32 v3, s9, v5
	v_mov_b32_e32 v2, v1
	v_cmp_ne_u64_e32 vcc, 0, v[2:3]
                                        ; implicit-def: $vgpr2_vgpr3
	s_and_saveexec_b64 s[2:3], vcc
	s_xor_b64 s[10:11], exec, s[2:3]
	s_cbranch_execz .LBB85_2
; %bb.1:
	s_ashr_i32 s12, s9, 31
	s_add_u32 s2, s8, s12
	s_mov_b32 s13, s12
	s_addc_u32 s3, s9, s12
	s_xor_b64 s[14:15], s[2:3], s[12:13]
	v_cvt_f32_u32_e32 v0, s14
	v_cvt_f32_u32_e32 v2, s15
	s_sub_u32 s2, 0, s14
	s_subb_u32 s3, 0, s15
	v_fmamk_f32 v0, v2, 0x4f800000, v0
	v_rcp_f32_e32 v0, v0
	s_nop 0
	v_mul_f32_e32 v0, 0x5f7ffffc, v0
	v_mul_f32_e32 v2, 0x2f800000, v0
	v_trunc_f32_e32 v2, v2
	v_fmamk_f32 v0, v2, 0xcf800000, v0
	v_cvt_u32_f32_e32 v6, v2
	v_cvt_u32_f32_e32 v7, v0
	v_mul_lo_u32 v0, s2, v6
	v_mul_hi_u32 v3, s2, v7
	v_mul_lo_u32 v2, s3, v7
	v_add_u32_e32 v0, v3, v0
	v_mul_lo_u32 v8, s2, v7
	v_add_u32_e32 v9, v0, v2
	v_mul_hi_u32 v3, v7, v9
	v_mul_lo_u32 v2, v7, v9
	v_mul_hi_u32 v0, v7, v8
	v_lshl_add_u64 v[2:3], v[0:1], 0, v[2:3]
	v_mul_hi_u32 v0, v6, v8
	v_mul_lo_u32 v8, v6, v8
	v_add_co_u32_e32 v2, vcc, v2, v8
	v_mul_hi_u32 v10, v6, v9
	s_nop 0
	v_addc_co_u32_e32 v0, vcc, v3, v0, vcc
	v_mul_lo_u32 v2, v6, v9
	s_nop 0
	v_addc_co_u32_e32 v3, vcc, 0, v10, vcc
	v_lshl_add_u64 v[2:3], v[0:1], 0, v[2:3]
	v_add_co_u32_e32 v7, vcc, v7, v2
	v_mul_hi_u32 v2, s2, v7
	s_nop 0
	v_addc_co_u32_e32 v6, vcc, v6, v3, vcc
	v_mul_lo_u32 v0, s2, v6
	v_add_u32_e32 v0, v2, v0
	v_mul_lo_u32 v2, s3, v7
	v_add_u32_e32 v8, v0, v2
	v_mul_lo_u32 v0, s2, v7
	v_mul_hi_u32 v10, v6, v0
	v_mul_lo_u32 v11, v6, v0
	v_mul_hi_u32 v3, v7, v8
	;; [unrolled: 2-line block ×3, first 2 shown]
	v_lshl_add_u64 v[2:3], v[0:1], 0, v[2:3]
	v_add_co_u32_e32 v0, vcc, v2, v11
	v_mul_hi_u32 v9, v6, v8
	s_nop 0
	v_addc_co_u32_e32 v0, vcc, v3, v10, vcc
	v_mul_lo_u32 v2, v6, v8
	s_nop 0
	v_addc_co_u32_e32 v3, vcc, 0, v9, vcc
	v_lshl_add_u64 v[2:3], v[0:1], 0, v[2:3]
	v_add_co_u32_e32 v10, vcc, v7, v2
	v_ashrrev_i32_e32 v2, 31, v5
	s_nop 0
	v_addc_co_u32_e32 v8, vcc, v6, v3, vcc
	v_mov_b32_e32 v3, v2
	v_lshl_add_u64 v[6:7], v[4:5], 0, v[2:3]
	v_xor_b32_e32 v12, v6, v2
	v_xor_b32_e32 v3, v7, v2
	v_mad_u64_u32 v[6:7], s[2:3], v12, v8, 0
	v_mul_hi_u32 v0, v12, v10
	v_lshl_add_u64 v[6:7], v[0:1], 0, v[6:7]
	v_mad_u64_u32 v[10:11], s[2:3], v3, v10, 0
	v_add_co_u32_e32 v0, vcc, v6, v10
	v_mad_u64_u32 v[8:9], s[2:3], v3, v8, 0
	s_nop 0
	v_addc_co_u32_e32 v0, vcc, v7, v11, vcc
	s_nop 1
	v_addc_co_u32_e32 v9, vcc, 0, v9, vcc
	v_lshl_add_u64 v[0:1], v[0:1], 0, v[8:9]
	v_mul_lo_u32 v8, s15, v0
	v_mul_lo_u32 v9, s14, v1
	v_mad_u64_u32 v[6:7], s[2:3], s14, v0, 0
	v_add3_u32 v10, v7, v9, v8
	v_sub_u32_e32 v7, v3, v10
	v_mov_b32_e32 v8, s15
	v_sub_co_u32_e32 v11, vcc, v12, v6
	s_nop 1
	v_subb_co_u32_e64 v6, s[2:3], v7, v8, vcc
	v_subrev_co_u32_e64 v7, s[2:3], s14, v11
	v_subb_co_u32_e32 v3, vcc, v3, v10, vcc
	s_nop 0
	v_subbrev_co_u32_e64 v6, s[2:3], 0, v6, s[2:3]
	v_cmp_le_u32_e64 s[2:3], s15, v6
	v_cmp_le_u32_e32 vcc, s15, v3
	s_nop 0
	v_cndmask_b32_e64 v8, 0, -1, s[2:3]
	v_cmp_le_u32_e64 s[2:3], s14, v7
	s_nop 1
	v_cndmask_b32_e64 v7, 0, -1, s[2:3]
	v_cmp_eq_u32_e64 s[2:3], s15, v6
	s_nop 1
	v_cndmask_b32_e64 v12, v8, v7, s[2:3]
	v_lshl_add_u64 v[6:7], v[0:1], 0, 2
	v_lshl_add_u64 v[8:9], v[0:1], 0, 1
	v_cmp_ne_u32_e64 s[2:3], 0, v12
	s_nop 1
	v_cndmask_b32_e64 v7, v9, v7, s[2:3]
	v_cndmask_b32_e64 v9, 0, -1, vcc
	v_cmp_le_u32_e32 vcc, s14, v11
	s_nop 1
	v_cndmask_b32_e64 v10, 0, -1, vcc
	v_cmp_eq_u32_e32 vcc, s15, v3
	s_nop 1
	v_cndmask_b32_e32 v3, v9, v10, vcc
	v_cmp_ne_u32_e32 vcc, 0, v3
	v_cndmask_b32_e64 v3, v8, v6, s[2:3]
	s_nop 0
	v_cndmask_b32_e32 v0, v0, v3, vcc
	v_xor_b32_e32 v3, s12, v2
	v_cndmask_b32_e32 v1, v1, v7, vcc
	v_xor_b32_e32 v0, v0, v3
	v_xor_b32_e32 v1, v1, v3
	v_sub_co_u32_e32 v2, vcc, v0, v3
	s_nop 1
	v_subb_co_u32_e32 v3, vcc, v1, v3, vcc
.LBB85_2:
	s_or_saveexec_b64 s[2:3], s[10:11]
	s_load_dwordx2 s[4:5], s[4:5], 0x0
	s_xor_b64 exec, exec, s[2:3]
	s_cbranch_execz .LBB85_4
; %bb.3:
	v_cvt_f32_u32_e32 v0, s8
	s_sub_i32 s10, 0, s8
	v_rcp_iflag_f32_e32 v0, v0
	s_nop 0
	v_mul_f32_e32 v0, 0x4f7ffffe, v0
	v_cvt_u32_f32_e32 v0, v0
	v_mul_lo_u32 v1, s10, v0
	v_mul_hi_u32 v1, v0, v1
	v_add_u32_e32 v0, v0, v1
	v_mul_hi_u32 v0, v4, v0
	v_mul_lo_u32 v1, v0, s8
	v_sub_u32_e32 v1, v4, v1
	v_add_u32_e32 v2, 1, v0
	v_subrev_u32_e32 v3, s8, v1
	v_cmp_le_u32_e32 vcc, s8, v1
	s_nop 1
	v_cndmask_b32_e32 v1, v1, v3, vcc
	v_cndmask_b32_e32 v0, v0, v2, vcc
	v_add_u32_e32 v2, 1, v0
	v_cmp_le_u32_e32 vcc, s8, v1
	v_mov_b32_e32 v3, 0
	s_nop 0
	v_cndmask_b32_e32 v2, v0, v2, vcc
.LBB85_4:
	s_or_b64 exec, exec, s[2:3]
	s_load_dwordx4 s[24:27], s[0:1], 0x20
	v_mul_lo_u32 v6, v3, s8
	v_mul_lo_u32 v7, v2, s9
	v_mad_u64_u32 v[0:1], s[2:3], v2, s8, 0
	v_add3_u32 v1, v1, v7, v6
	v_sub_co_u32_e32 v0, vcc, v4, v0
	s_waitcnt lgkmcnt(0)
	v_cmp_gt_i64_e64 s[2:3], s[4:5], v[2:3]
	v_subb_co_u32_e32 v1, vcc, v5, v1, vcc
	v_cmp_gt_i64_e32 vcc, s[26:27], v[0:1]
	s_and_b64 s[2:3], vcc, s[2:3]
	s_and_saveexec_b64 s[8:9], s[2:3]
	s_cbranch_execz .LBB85_20
; %bb.5:
	s_load_dwordx8 s[8:15], s[0:1], 0x38
	s_load_dwordx8 s[16:23], s[0:1], 0x0
	s_add_u32 s2, s4, -1
	s_addc_u32 s3, s5, -1
	v_cmp_ne_u64_e32 vcc, s[2:3], v[2:3]
	s_waitcnt lgkmcnt(0)
	v_mov_b32_e32 v4, s14
	v_mov_b32_e32 v5, s15
	v_lshl_add_u64 v[6:7], v[2:3], 2, v[4:5]
	global_load_dword v4, v[6:7], off
                                        ; implicit-def: $vgpr18
	s_and_saveexec_b64 s[2:3], vcc
	s_xor_b64 s[2:3], exec, s[2:3]
	s_cbranch_execz .LBB85_7
; %bb.6:
	global_load_dword v18, v[6:7], off offset:4
.LBB85_7:
	s_andn2_saveexec_b64 s[2:3], s[2:3]
	s_cbranch_execz .LBB85_9
; %bb.8:
	s_waitcnt vmcnt(0)
	v_mov_b32_e32 v18, s24
.LBB85_9:
	s_or_b64 exec, exec, s[2:3]
	s_waitcnt vmcnt(0)
	v_cmp_lt_i32_e32 vcc, v4, v18
	v_mov_b32_e32 v5, 0
	s_and_saveexec_b64 s[14:15], vcc
	s_cbranch_execz .LBB85_19
; %bb.10:
	s_load_dword s4, s[0:1], 0x30
	s_cmp_lg_u64 s[22:23], 0
	s_cselect_b64 s[0:1], -1, 0
	s_cmp_lg_u64 s[10:11], 0
	s_cselect_b64 s[2:3], -1, 0
	s_waitcnt lgkmcnt(0)
	s_cmp_lg_u32 s4, 0
	v_cndmask_b32_e64 v12, 0, 1, s[0:1]
	v_ashrrev_i32_e32 v5, 31, v4
	v_cmp_ne_u32_e64 s[0:1], 1, v12
	v_cndmask_b32_e64 v12, 0, 1, s[2:3]
	s_cselect_b64 s[4:5], -1, 0
	v_mov_b32_e32 v6, s18
	v_mov_b32_e32 v7, s19
	v_lshlrev_b64 v[10:11], 2, v[4:5]
	v_cmp_ne_u32_e64 s[2:3], 1, v12
	v_cndmask_b32_e64 v12, 0, 1, s[4:5]
	s_mov_b64 s[18:19], 0
	v_lshl_add_u64 v[6:7], v[0:1], 2, v[6:7]
	v_lshl_add_u64 v[8:9], s[16:17], 0, v[10:11]
	;; [unrolled: 1-line block ×3, first 2 shown]
	v_mov_b32_e32 v5, 0
	v_cmp_ne_u32_e64 s[4:5], 1, v12
	s_branch .LBB85_12
.LBB85_11:                              ;   in Loop: Header=BB85_12 Depth=1
	v_add_u32_e32 v4, 1, v4
	v_cmp_ge_i32_e32 vcc, v4, v18
	s_waitcnt vmcnt(0)
	v_fmac_f32_e32 v5, v16, v14
	v_lshl_add_u64 v[8:9], v[8:9], 0, 4
	s_or_b64 s[18:19], vcc, s[18:19]
	v_lshl_add_u64 v[10:11], v[10:11], 0, 4
	s_andn2_b64 exec, exec, s[18:19]
	s_cbranch_execz .LBB85_18
.LBB85_12:                              ; =>This Inner Loop Header: Depth=1
	global_load_dword v14, v[8:9], off
	s_and_b64 vcc, exec, s[0:1]
	s_waitcnt vmcnt(0)
	v_ashrrev_i32_e32 v15, 31, v14
	v_lshl_add_u64 v[12:13], v[14:15], 2, s[20:21]
	global_load_dword v12, v[12:13], off
	s_cbranch_vccnz .LBB85_17
; %bb.13:                               ;   in Loop: Header=BB85_12 Depth=1
	global_load_dword v13, v[10:11], off
	s_waitcnt vmcnt(0)
	v_cvt_f64_i32_e32 v[16:17], v13
	v_div_scale_f64 v[20:21], s[16:17], v[16:17], v[16:17], 1.0
	v_rcp_f64_e32 v[22:23], v[20:21]
	v_div_scale_f64 v[24:25], vcc, 1.0, v[16:17], 1.0
	v_fma_f64 v[26:27], -v[20:21], v[22:23], 1.0
	v_fmac_f64_e32 v[22:23], v[22:23], v[26:27]
	v_fma_f64 v[26:27], -v[20:21], v[22:23], 1.0
	v_fmac_f64_e32 v[22:23], v[22:23], v[26:27]
	v_mul_f64 v[26:27], v[24:25], v[22:23]
	v_fma_f64 v[20:21], -v[20:21], v[26:27], v[24:25]
	v_div_fmas_f64 v[20:21], v[20:21], v[22:23], v[26:27]
	v_div_fixup_f64 v[16:17], v[20:21], v[16:17], 1.0
	s_and_b64 vcc, exec, s[2:3]
	v_cvt_f32_f64_e32 v16, v[16:17]
	s_cbranch_vccnz .LBB85_15
.LBB85_14:                              ;   in Loop: Header=BB85_12 Depth=1
	v_mul_lo_u32 v13, v15, s12
	v_mul_lo_u32 v17, v14, s13
	v_mad_u64_u32 v[14:15], s[16:17], v14, s12, 0
	v_add3_u32 v15, v15, v17, v13
	v_lshl_add_u64 v[14:15], v[14:15], 2, s[10:11]
	global_load_dword v13, v[14:15], off
	s_waitcnt vmcnt(0)
	v_mul_f32_e32 v16, v13, v16
.LBB85_15:                              ;   in Loop: Header=BB85_12 Depth=1
	s_waitcnt vmcnt(0)
	v_mul_lo_u32 v14, v12, s26
	v_ashrrev_i32_e32 v15, 31, v14
	v_lshl_add_u64 v[14:15], v[14:15], 2, v[6:7]
	global_load_dword v14, v[14:15], off
	s_and_b64 vcc, exec, s[4:5]
	s_cbranch_vccnz .LBB85_11
; %bb.16:                               ;   in Loop: Header=BB85_12 Depth=1
	v_ashrrev_i32_e32 v13, 31, v12
	v_lshl_add_u64 v[12:13], v[12:13], 2, s[8:9]
	global_load_dword v12, v[12:13], off
	s_waitcnt vmcnt(0)
	v_cvt_f32_i32_e32 v12, v12
	v_div_scale_f32 v13, s[16:17], v12, v12, v14
	v_rcp_f32_e32 v15, v13
	v_div_scale_f32 v17, vcc, v14, v12, v14
	v_fma_f32 v19, -v13, v15, 1.0
	v_fmac_f32_e32 v15, v19, v15
	v_mul_f32_e32 v19, v17, v15
	v_fma_f32 v20, -v13, v19, v17
	v_fmac_f32_e32 v19, v20, v15
	v_fma_f32 v13, -v13, v19, v17
	v_div_fmas_f32 v13, v13, v15, v19
	v_div_fixup_f32 v14, v13, v12, v14
	s_branch .LBB85_11
.LBB85_17:                              ;   in Loop: Header=BB85_12 Depth=1
	v_mov_b64_e32 v[16:17], 1.0
	s_and_b64 vcc, exec, s[2:3]
	v_cvt_f32_f64_e32 v16, v[16:17]
	s_cbranch_vccz .LBB85_14
	s_branch .LBB85_15
.LBB85_18:
	s_or_b64 exec, exec, s[18:19]
.LBB85_19:
	s_or_b64 exec, exec, s[14:15]
	v_mul_lo_u32 v4, v3, s26
	v_mul_lo_u32 v8, v2, s27
	v_mad_u64_u32 v[2:3], s[0:1], v2, s26, 0
	v_mov_b32_e32 v6, s6
	v_mov_b32_e32 v7, s7
	v_add3_u32 v3, v3, v8, v4
	v_lshl_add_u64 v[2:3], v[2:3], 2, v[6:7]
	v_lshl_add_u64 v[0:1], v[0:1], 2, v[2:3]
	global_store_dword v[0:1], v5, off
.LBB85_20:
	s_endpgm
	.section	.rodata,"a",@progbits
	.p2align	6, 0x0
	.amdhsa_kernel _ZN2at6native12_GLOBAL__N_124compute_grad_weight_bagsIfiEEvPKT0_PKT_S5_S5_lliS5_S8_lS5_PKlPNS_14AccumulateTypeIS6_Lb1EE4typeEl
		.amdhsa_group_segment_fixed_size 0
		.amdhsa_private_segment_fixed_size 0
		.amdhsa_kernarg_size 368
		.amdhsa_user_sgpr_count 2
		.amdhsa_user_sgpr_dispatch_ptr 0
		.amdhsa_user_sgpr_queue_ptr 0
		.amdhsa_user_sgpr_kernarg_segment_ptr 1
		.amdhsa_user_sgpr_dispatch_id 0
		.amdhsa_user_sgpr_kernarg_preload_length 0
		.amdhsa_user_sgpr_kernarg_preload_offset 0
		.amdhsa_user_sgpr_private_segment_size 0
		.amdhsa_uses_dynamic_stack 0
		.amdhsa_enable_private_segment 0
		.amdhsa_system_sgpr_workgroup_id_x 1
		.amdhsa_system_sgpr_workgroup_id_y 0
		.amdhsa_system_sgpr_workgroup_id_z 0
		.amdhsa_system_sgpr_workgroup_info 0
		.amdhsa_system_vgpr_workitem_id 0
		.amdhsa_next_free_vgpr 28
		.amdhsa_next_free_sgpr 28
		.amdhsa_accum_offset 28
		.amdhsa_reserve_vcc 1
		.amdhsa_float_round_mode_32 0
		.amdhsa_float_round_mode_16_64 0
		.amdhsa_float_denorm_mode_32 3
		.amdhsa_float_denorm_mode_16_64 3
		.amdhsa_dx10_clamp 1
		.amdhsa_ieee_mode 1
		.amdhsa_fp16_overflow 0
		.amdhsa_tg_split 0
		.amdhsa_exception_fp_ieee_invalid_op 0
		.amdhsa_exception_fp_denorm_src 0
		.amdhsa_exception_fp_ieee_div_zero 0
		.amdhsa_exception_fp_ieee_overflow 0
		.amdhsa_exception_fp_ieee_underflow 0
		.amdhsa_exception_fp_ieee_inexact 0
		.amdhsa_exception_int_div_zero 0
	.end_amdhsa_kernel
	.section	.text._ZN2at6native12_GLOBAL__N_124compute_grad_weight_bagsIfiEEvPKT0_PKT_S5_S5_lliS5_S8_lS5_PKlPNS_14AccumulateTypeIS6_Lb1EE4typeEl,"axG",@progbits,_ZN2at6native12_GLOBAL__N_124compute_grad_weight_bagsIfiEEvPKT0_PKT_S5_S5_lliS5_S8_lS5_PKlPNS_14AccumulateTypeIS6_Lb1EE4typeEl,comdat
.Lfunc_end85:
	.size	_ZN2at6native12_GLOBAL__N_124compute_grad_weight_bagsIfiEEvPKT0_PKT_S5_S5_lliS5_S8_lS5_PKlPNS_14AccumulateTypeIS6_Lb1EE4typeEl, .Lfunc_end85-_ZN2at6native12_GLOBAL__N_124compute_grad_weight_bagsIfiEEvPKT0_PKT_S5_S5_lliS5_S8_lS5_PKlPNS_14AccumulateTypeIS6_Lb1EE4typeEl
                                        ; -- End function
	.section	.AMDGPU.csdata,"",@progbits
; Kernel info:
; codeLenInByte = 1760
; NumSgprs: 34
; NumVgprs: 28
; NumAgprs: 0
; TotalNumVgprs: 28
; ScratchSize: 0
; MemoryBound: 0
; FloatMode: 240
; IeeeMode: 1
; LDSByteSize: 0 bytes/workgroup (compile time only)
; SGPRBlocks: 4
; VGPRBlocks: 3
; NumSGPRsForWavesPerEU: 34
; NumVGPRsForWavesPerEU: 28
; AccumOffset: 28
; Occupancy: 8
; WaveLimiterHint : 1
; COMPUTE_PGM_RSRC2:SCRATCH_EN: 0
; COMPUTE_PGM_RSRC2:USER_SGPR: 2
; COMPUTE_PGM_RSRC2:TRAP_HANDLER: 0
; COMPUTE_PGM_RSRC2:TGID_X_EN: 1
; COMPUTE_PGM_RSRC2:TGID_Y_EN: 0
; COMPUTE_PGM_RSRC2:TGID_Z_EN: 0
; COMPUTE_PGM_RSRC2:TIDIG_COMP_CNT: 0
; COMPUTE_PGM_RSRC3_GFX90A:ACCUM_OFFSET: 6
; COMPUTE_PGM_RSRC3_GFX90A:TG_SPLIT: 0
	.section	.text._ZN2at6native12_GLOBAL__N_119compute_grad_weightIfiEEvPKT0_PKT_S5_llS5_PKlPNS_14AccumulateTypeIS6_Lb1EE4typeEl,"axG",@progbits,_ZN2at6native12_GLOBAL__N_119compute_grad_weightIfiEEvPKT0_PKT_S5_llS5_PKlPNS_14AccumulateTypeIS6_Lb1EE4typeEl,comdat
	.globl	_ZN2at6native12_GLOBAL__N_119compute_grad_weightIfiEEvPKT0_PKT_S5_llS5_PKlPNS_14AccumulateTypeIS6_Lb1EE4typeEl ; -- Begin function _ZN2at6native12_GLOBAL__N_119compute_grad_weightIfiEEvPKT0_PKT_S5_llS5_PKlPNS_14AccumulateTypeIS6_Lb1EE4typeEl
	.p2align	8
	.type	_ZN2at6native12_GLOBAL__N_119compute_grad_weightIfiEEvPKT0_PKT_S5_llS5_PKlPNS_14AccumulateTypeIS6_Lb1EE4typeEl,@function
_ZN2at6native12_GLOBAL__N_119compute_grad_weightIfiEEvPKT0_PKT_S5_llS5_PKlPNS_14AccumulateTypeIS6_Lb1EE4typeEl: ; @_ZN2at6native12_GLOBAL__N_119compute_grad_weightIfiEEvPKT0_PKT_S5_llS5_PKlPNS_14AccumulateTypeIS6_Lb1EE4typeEl
; %bb.0:
	s_load_dword s3, s[0:1], 0x54
	s_load_dwordx2 s[20:21], s[0:1], 0x40
	s_load_dwordx16 s[4:19], s[0:1], 0x0
	v_mov_b32_e32 v1, 0
	v_mov_b32_e32 v2, s2
	s_waitcnt lgkmcnt(0)
	s_and_b32 s0, s3, 0xffff
	v_mad_u64_u32 v[2:3], s[0:1], s0, v2, v[0:1]
	v_or_b32_e32 v5, s21, v3
	v_mov_b32_e32 v4, v1
	v_cmp_ne_u64_e32 vcc, 0, v[4:5]
                                        ; implicit-def: $vgpr4_vgpr5
	s_and_saveexec_b64 s[0:1], vcc
	s_xor_b64 s[2:3], exec, s[0:1]
	s_cbranch_execz .LBB86_2
; %bb.1:
	s_ashr_i32 s22, s21, 31
	s_add_u32 s0, s20, s22
	s_mov_b32 s23, s22
	s_addc_u32 s1, s21, s22
	s_xor_b64 s[24:25], s[0:1], s[22:23]
	v_cvt_f32_u32_e32 v0, s24
	v_cvt_f32_u32_e32 v4, s25
	s_sub_u32 s0, 0, s24
	s_subb_u32 s1, 0, s25
	v_fmamk_f32 v0, v4, 0x4f800000, v0
	v_rcp_f32_e32 v0, v0
	s_nop 0
	v_mul_f32_e32 v0, 0x5f7ffffc, v0
	v_mul_f32_e32 v4, 0x2f800000, v0
	v_trunc_f32_e32 v4, v4
	v_fmamk_f32 v0, v4, 0xcf800000, v0
	v_cvt_u32_f32_e32 v6, v4
	v_cvt_u32_f32_e32 v7, v0
	v_mul_lo_u32 v0, s0, v6
	v_mul_hi_u32 v5, s0, v7
	v_mul_lo_u32 v4, s1, v7
	v_add_u32_e32 v0, v5, v0
	v_mul_lo_u32 v8, s0, v7
	v_add_u32_e32 v9, v0, v4
	v_mul_hi_u32 v5, v7, v9
	v_mul_lo_u32 v4, v7, v9
	v_mul_hi_u32 v0, v7, v8
	v_lshl_add_u64 v[4:5], v[0:1], 0, v[4:5]
	v_mul_hi_u32 v0, v6, v8
	v_mul_lo_u32 v8, v6, v8
	v_add_co_u32_e32 v4, vcc, v4, v8
	v_mul_hi_u32 v10, v6, v9
	s_nop 0
	v_addc_co_u32_e32 v0, vcc, v5, v0, vcc
	v_mul_lo_u32 v4, v6, v9
	s_nop 0
	v_addc_co_u32_e32 v5, vcc, 0, v10, vcc
	v_lshl_add_u64 v[4:5], v[0:1], 0, v[4:5]
	v_add_co_u32_e32 v7, vcc, v7, v4
	v_mul_hi_u32 v4, s0, v7
	s_nop 0
	v_addc_co_u32_e32 v6, vcc, v6, v5, vcc
	v_mul_lo_u32 v0, s0, v6
	v_add_u32_e32 v0, v4, v0
	v_mul_lo_u32 v4, s1, v7
	v_add_u32_e32 v8, v0, v4
	v_mul_lo_u32 v0, s0, v7
	v_mul_hi_u32 v10, v6, v0
	v_mul_lo_u32 v11, v6, v0
	v_mul_hi_u32 v5, v7, v8
	;; [unrolled: 2-line block ×3, first 2 shown]
	v_lshl_add_u64 v[4:5], v[0:1], 0, v[4:5]
	v_add_co_u32_e32 v0, vcc, v4, v11
	v_mul_hi_u32 v9, v6, v8
	s_nop 0
	v_addc_co_u32_e32 v0, vcc, v5, v10, vcc
	v_mul_lo_u32 v4, v6, v8
	s_nop 0
	v_addc_co_u32_e32 v5, vcc, 0, v9, vcc
	v_lshl_add_u64 v[4:5], v[0:1], 0, v[4:5]
	v_add_co_u32_e32 v10, vcc, v7, v4
	v_ashrrev_i32_e32 v4, 31, v3
	s_nop 0
	v_addc_co_u32_e32 v8, vcc, v6, v5, vcc
	v_mov_b32_e32 v5, v4
	v_lshl_add_u64 v[6:7], v[2:3], 0, v[4:5]
	v_xor_b32_e32 v12, v6, v4
	v_xor_b32_e32 v5, v7, v4
	v_mad_u64_u32 v[6:7], s[0:1], v12, v8, 0
	v_mul_hi_u32 v0, v12, v10
	v_lshl_add_u64 v[6:7], v[0:1], 0, v[6:7]
	v_mad_u64_u32 v[10:11], s[0:1], v5, v10, 0
	v_add_co_u32_e32 v0, vcc, v6, v10
	v_mad_u64_u32 v[8:9], s[0:1], v5, v8, 0
	s_nop 0
	v_addc_co_u32_e32 v0, vcc, v7, v11, vcc
	s_nop 1
	v_addc_co_u32_e32 v9, vcc, 0, v9, vcc
	v_lshl_add_u64 v[0:1], v[0:1], 0, v[8:9]
	v_mul_lo_u32 v8, s25, v0
	v_mul_lo_u32 v9, s24, v1
	v_mad_u64_u32 v[6:7], s[0:1], s24, v0, 0
	v_add3_u32 v10, v7, v9, v8
	v_sub_u32_e32 v7, v5, v10
	v_mov_b32_e32 v8, s25
	v_sub_co_u32_e32 v11, vcc, v12, v6
	s_nop 1
	v_subb_co_u32_e64 v6, s[0:1], v7, v8, vcc
	v_subrev_co_u32_e64 v7, s[0:1], s24, v11
	v_subb_co_u32_e32 v5, vcc, v5, v10, vcc
	s_nop 0
	v_subbrev_co_u32_e64 v6, s[0:1], 0, v6, s[0:1]
	v_cmp_le_u32_e64 s[0:1], s25, v6
	v_cmp_le_u32_e32 vcc, s25, v5
	s_nop 0
	v_cndmask_b32_e64 v8, 0, -1, s[0:1]
	v_cmp_le_u32_e64 s[0:1], s24, v7
	s_nop 1
	v_cndmask_b32_e64 v7, 0, -1, s[0:1]
	v_cmp_eq_u32_e64 s[0:1], s25, v6
	s_nop 1
	v_cndmask_b32_e64 v12, v8, v7, s[0:1]
	v_lshl_add_u64 v[6:7], v[0:1], 0, 2
	v_lshl_add_u64 v[8:9], v[0:1], 0, 1
	v_cmp_ne_u32_e64 s[0:1], 0, v12
	s_nop 1
	v_cndmask_b32_e64 v7, v9, v7, s[0:1]
	v_cndmask_b32_e64 v9, 0, -1, vcc
	v_cmp_le_u32_e32 vcc, s24, v11
	s_nop 1
	v_cndmask_b32_e64 v10, 0, -1, vcc
	v_cmp_eq_u32_e32 vcc, s25, v5
	s_nop 1
	v_cndmask_b32_e32 v5, v9, v10, vcc
	v_cmp_ne_u32_e32 vcc, 0, v5
	v_cndmask_b32_e64 v5, v8, v6, s[0:1]
	s_nop 0
	v_cndmask_b32_e32 v0, v0, v5, vcc
	v_xor_b32_e32 v5, s22, v4
	v_cndmask_b32_e32 v1, v1, v7, vcc
	v_xor_b32_e32 v0, v0, v5
	v_xor_b32_e32 v1, v1, v5
	v_sub_co_u32_e32 v4, vcc, v0, v5
	s_nop 1
	v_subb_co_u32_e32 v5, vcc, v1, v5, vcc
.LBB86_2:
	s_or_saveexec_b64 s[0:1], s[2:3]
	s_load_dwordx2 s[2:3], s[16:17], 0x0
	s_xor_b64 exec, exec, s[0:1]
	s_cbranch_execz .LBB86_4
; %bb.3:
	v_cvt_f32_u32_e32 v0, s20
	s_sub_i32 s11, 0, s20
	v_rcp_iflag_f32_e32 v0, v0
	s_nop 0
	v_mul_f32_e32 v0, 0x4f7ffffe, v0
	v_cvt_u32_f32_e32 v0, v0
	v_mul_lo_u32 v1, s11, v0
	v_mul_hi_u32 v1, v0, v1
	v_add_u32_e32 v0, v0, v1
	v_mul_hi_u32 v0, v2, v0
	v_mul_lo_u32 v1, v0, s20
	v_sub_u32_e32 v1, v2, v1
	v_add_u32_e32 v4, 1, v0
	v_subrev_u32_e32 v5, s20, v1
	v_cmp_le_u32_e32 vcc, s20, v1
	s_nop 1
	v_cndmask_b32_e32 v1, v1, v5, vcc
	v_cndmask_b32_e32 v0, v0, v4, vcc
	v_add_u32_e32 v4, 1, v0
	v_cmp_le_u32_e32 vcc, s20, v1
	v_mov_b32_e32 v5, 0
	s_nop 0
	v_cndmask_b32_e32 v4, v0, v4, vcc
.LBB86_4:
	s_or_b64 exec, exec, s[0:1]
	v_mul_lo_u32 v6, v5, s20
	v_mul_lo_u32 v7, v4, s21
	v_mad_u64_u32 v[0:1], s[0:1], v4, s20, 0
	v_add3_u32 v1, v1, v7, v6
	v_sub_co_u32_e32 v0, vcc, v2, v0
	s_waitcnt lgkmcnt(0)
	v_cmp_gt_i64_e64 s[0:1], s[2:3], v[4:5]
	v_subb_co_u32_e32 v1, vcc, v3, v1, vcc
	v_cmp_gt_i64_e32 vcc, s[12:13], v[0:1]
	s_and_b64 s[0:1], vcc, s[0:1]
	s_and_saveexec_b64 s[16:17], s[0:1]
	s_cbranch_execz .LBB86_17
; %bb.5:
	v_mov_b32_e32 v2, s14
	v_mov_b32_e32 v3, s15
	v_lshl_add_u64 v[6:7], v[4:5], 2, v[2:3]
	global_load_dword v2, v[6:7], off
	s_add_u32 s0, s2, -1
	s_addc_u32 s1, s3, -1
	v_cmp_ne_u64_e32 vcc, s[0:1], v[4:5]
                                        ; implicit-def: $vgpr12
	s_and_saveexec_b64 s[0:1], vcc
	s_xor_b64 s[0:1], exec, s[0:1]
	s_cbranch_execz .LBB86_7
; %bb.6:
	global_load_dword v12, v[6:7], off offset:4
.LBB86_7:
	s_andn2_saveexec_b64 s[0:1], s[0:1]
	s_cbranch_execz .LBB86_9
; %bb.8:
	s_waitcnt vmcnt(0)
	v_mov_b32_e32 v12, s10
.LBB86_9:
	s_or_b64 exec, exec, s[0:1]
	s_waitcnt vmcnt(0)
	v_cmp_lt_i32_e32 vcc, v2, v12
	v_mov_b32_e32 v3, 0
	s_and_saveexec_b64 s[2:3], vcc
	s_cbranch_execz .LBB86_16
; %bb.10:
	s_cmp_lg_u64 s[8:9], 0
	v_ashrrev_i32_e32 v3, 31, v2
	s_cselect_b64 s[0:1], -1, 0
	v_mov_b32_e32 v6, s6
	v_mov_b32_e32 v7, s7
	v_lshlrev_b64 v[10:11], 2, v[2:3]
	v_cndmask_b32_e64 v13, 0, 1, s[0:1]
	v_lshl_add_u64 v[6:7], v[0:1], 2, v[6:7]
	s_mov_b64 s[6:7], 0
	v_lshl_add_u64 v[8:9], s[4:5], 0, v[10:11]
	v_lshl_add_u64 v[10:11], s[8:9], 0, v[10:11]
	v_mov_b32_e32 v3, 0
	v_cmp_ne_u32_e64 s[0:1], 1, v13
	s_branch .LBB86_13
.LBB86_11:                              ;   in Loop: Header=BB86_13 Depth=1
	global_load_dword v14, v[10:11], off
	s_waitcnt vmcnt(0)
	v_cvt_f32_i32_e32 v14, v14
	v_div_scale_f32 v15, s[4:5], v14, v14, 1.0
	v_rcp_f32_e32 v16, v15
	v_div_scale_f32 v17, vcc, 1.0, v14, 1.0
	v_fma_f32 v18, -v15, v16, 1.0
	v_fmac_f32_e32 v16, v18, v16
	v_mul_f32_e32 v18, v17, v16
	v_fma_f32 v19, -v15, v18, v17
	v_fmac_f32_e32 v18, v19, v16
	v_fma_f32 v15, -v15, v18, v17
	v_div_fmas_f32 v15, v15, v16, v18
	v_div_fixup_f32 v14, v15, v14, 1.0
.LBB86_12:                              ;   in Loop: Header=BB86_13 Depth=1
	s_waitcnt vmcnt(0)
	v_ashrrev_i32_e32 v15, 31, v13
	v_mul_lo_u32 v18, v13, s13
	v_mul_lo_u32 v15, v15, s12
	v_mad_u64_u32 v[16:17], s[4:5], v13, s12, 0
	v_add3_u32 v17, v17, v18, v15
	v_lshl_add_u64 v[16:17], v[16:17], 2, v[6:7]
	global_load_dword v13, v[16:17], off
	v_add_u32_e32 v2, 1, v2
	v_cmp_ge_i32_e32 vcc, v2, v12
	v_lshl_add_u64 v[8:9], v[8:9], 0, 4
	s_or_b64 s[6:7], vcc, s[6:7]
	v_lshl_add_u64 v[10:11], v[10:11], 0, 4
	s_waitcnt vmcnt(0)
	v_fmac_f32_e32 v3, v14, v13
	s_andn2_b64 exec, exec, s[6:7]
	s_cbranch_execz .LBB86_15
.LBB86_13:                              ; =>This Inner Loop Header: Depth=1
	global_load_dword v13, v[8:9], off
	s_and_b64 vcc, exec, s[0:1]
	s_cbranch_vccz .LBB86_11
; %bb.14:                               ;   in Loop: Header=BB86_13 Depth=1
	v_mov_b32_e32 v14, 1.0
	s_branch .LBB86_12
.LBB86_15:
	s_or_b64 exec, exec, s[6:7]
.LBB86_16:
	s_or_b64 exec, exec, s[2:3]
	v_mul_lo_u32 v2, v5, s12
	v_mul_lo_u32 v8, v4, s13
	v_mad_u64_u32 v[4:5], s[0:1], v4, s12, 0
	v_mov_b32_e32 v6, s18
	v_mov_b32_e32 v7, s19
	v_add3_u32 v5, v5, v8, v2
	v_lshl_add_u64 v[4:5], v[4:5], 2, v[6:7]
	v_lshl_add_u64 v[0:1], v[0:1], 2, v[4:5]
	global_store_dword v[0:1], v3, off
.LBB86_17:
	s_endpgm
	.section	.rodata,"a",@progbits
	.p2align	6, 0x0
	.amdhsa_kernel _ZN2at6native12_GLOBAL__N_119compute_grad_weightIfiEEvPKT0_PKT_S5_llS5_PKlPNS_14AccumulateTypeIS6_Lb1EE4typeEl
		.amdhsa_group_segment_fixed_size 0
		.amdhsa_private_segment_fixed_size 0
		.amdhsa_kernarg_size 328
		.amdhsa_user_sgpr_count 2
		.amdhsa_user_sgpr_dispatch_ptr 0
		.amdhsa_user_sgpr_queue_ptr 0
		.amdhsa_user_sgpr_kernarg_segment_ptr 1
		.amdhsa_user_sgpr_dispatch_id 0
		.amdhsa_user_sgpr_kernarg_preload_length 0
		.amdhsa_user_sgpr_kernarg_preload_offset 0
		.amdhsa_user_sgpr_private_segment_size 0
		.amdhsa_uses_dynamic_stack 0
		.amdhsa_enable_private_segment 0
		.amdhsa_system_sgpr_workgroup_id_x 1
		.amdhsa_system_sgpr_workgroup_id_y 0
		.amdhsa_system_sgpr_workgroup_id_z 0
		.amdhsa_system_sgpr_workgroup_info 0
		.amdhsa_system_vgpr_workitem_id 0
		.amdhsa_next_free_vgpr 20
		.amdhsa_next_free_sgpr 26
		.amdhsa_accum_offset 20
		.amdhsa_reserve_vcc 1
		.amdhsa_float_round_mode_32 0
		.amdhsa_float_round_mode_16_64 0
		.amdhsa_float_denorm_mode_32 3
		.amdhsa_float_denorm_mode_16_64 3
		.amdhsa_dx10_clamp 1
		.amdhsa_ieee_mode 1
		.amdhsa_fp16_overflow 0
		.amdhsa_tg_split 0
		.amdhsa_exception_fp_ieee_invalid_op 0
		.amdhsa_exception_fp_denorm_src 0
		.amdhsa_exception_fp_ieee_div_zero 0
		.amdhsa_exception_fp_ieee_overflow 0
		.amdhsa_exception_fp_ieee_underflow 0
		.amdhsa_exception_fp_ieee_inexact 0
		.amdhsa_exception_int_div_zero 0
	.end_amdhsa_kernel
	.section	.text._ZN2at6native12_GLOBAL__N_119compute_grad_weightIfiEEvPKT0_PKT_S5_llS5_PKlPNS_14AccumulateTypeIS6_Lb1EE4typeEl,"axG",@progbits,_ZN2at6native12_GLOBAL__N_119compute_grad_weightIfiEEvPKT0_PKT_S5_llS5_PKlPNS_14AccumulateTypeIS6_Lb1EE4typeEl,comdat
.Lfunc_end86:
	.size	_ZN2at6native12_GLOBAL__N_119compute_grad_weightIfiEEvPKT0_PKT_S5_llS5_PKlPNS_14AccumulateTypeIS6_Lb1EE4typeEl, .Lfunc_end86-_ZN2at6native12_GLOBAL__N_119compute_grad_weightIfiEEvPKT0_PKT_S5_llS5_PKlPNS_14AccumulateTypeIS6_Lb1EE4typeEl
                                        ; -- End function
	.section	.AMDGPU.csdata,"",@progbits
; Kernel info:
; codeLenInByte = 1476
; NumSgprs: 32
; NumVgprs: 20
; NumAgprs: 0
; TotalNumVgprs: 20
; ScratchSize: 0
; MemoryBound: 0
; FloatMode: 240
; IeeeMode: 1
; LDSByteSize: 0 bytes/workgroup (compile time only)
; SGPRBlocks: 3
; VGPRBlocks: 2
; NumSGPRsForWavesPerEU: 32
; NumVGPRsForWavesPerEU: 20
; AccumOffset: 20
; Occupancy: 8
; WaveLimiterHint : 1
; COMPUTE_PGM_RSRC2:SCRATCH_EN: 0
; COMPUTE_PGM_RSRC2:USER_SGPR: 2
; COMPUTE_PGM_RSRC2:TRAP_HANDLER: 0
; COMPUTE_PGM_RSRC2:TGID_X_EN: 1
; COMPUTE_PGM_RSRC2:TGID_Y_EN: 0
; COMPUTE_PGM_RSRC2:TGID_Z_EN: 0
; COMPUTE_PGM_RSRC2:TIDIG_COMP_CNT: 0
; COMPUTE_PGM_RSRC3_GFX90A:ACCUM_OFFSET: 4
; COMPUTE_PGM_RSRC3_GFX90A:TG_SPLIT: 0
	.section	.text._ZN2at6native12_GLOBAL__N_115sum_and_scatterIfiEEvPKT0_PT_lS5_PKlPKNS_14AccumulateTypeIS6_Lb1EE4typeES5_S9_ll,"axG",@progbits,_ZN2at6native12_GLOBAL__N_115sum_and_scatterIfiEEvPKT0_PT_lS5_PKlPKNS_14AccumulateTypeIS6_Lb1EE4typeES5_S9_ll,comdat
	.globl	_ZN2at6native12_GLOBAL__N_115sum_and_scatterIfiEEvPKT0_PT_lS5_PKlPKNS_14AccumulateTypeIS6_Lb1EE4typeES5_S9_ll ; -- Begin function _ZN2at6native12_GLOBAL__N_115sum_and_scatterIfiEEvPKT0_PT_lS5_PKlPKNS_14AccumulateTypeIS6_Lb1EE4typeES5_S9_ll
	.p2align	8
	.type	_ZN2at6native12_GLOBAL__N_115sum_and_scatterIfiEEvPKT0_PT_lS5_PKlPKNS_14AccumulateTypeIS6_Lb1EE4typeES5_S9_ll,@function
_ZN2at6native12_GLOBAL__N_115sum_and_scatterIfiEEvPKT0_PT_lS5_PKlPKNS_14AccumulateTypeIS6_Lb1EE4typeES5_S9_ll: ; @_ZN2at6native12_GLOBAL__N_115sum_and_scatterIfiEEvPKT0_PT_lS5_PKlPKNS_14AccumulateTypeIS6_Lb1EE4typeES5_S9_ll
; %bb.0:
	s_load_dword s3, s[0:1], 0x5c
	s_load_dwordx4 s[20:23], s[0:1], 0x40
	s_load_dwordx16 s[4:19], s[0:1], 0x0
	v_mov_b32_e32 v1, 0
	v_mov_b32_e32 v2, s2
	s_waitcnt lgkmcnt(0)
	s_and_b32 s0, s3, 0xffff
	v_mad_u64_u32 v[2:3], s[0:1], s0, v2, v[0:1]
	v_or_b32_e32 v5, s23, v3
	v_mov_b32_e32 v4, v1
	v_cmp_ne_u64_e32 vcc, 0, v[4:5]
                                        ; implicit-def: $vgpr4_vgpr5
	s_and_saveexec_b64 s[0:1], vcc
	s_xor_b64 s[2:3], exec, s[0:1]
	s_cbranch_execz .LBB87_2
; %bb.1:
	s_ashr_i32 s24, s23, 31
	s_add_u32 s0, s22, s24
	s_mov_b32 s25, s24
	s_addc_u32 s1, s23, s24
	s_xor_b64 s[26:27], s[0:1], s[24:25]
	v_cvt_f32_u32_e32 v0, s26
	v_cvt_f32_u32_e32 v4, s27
	s_sub_u32 s0, 0, s26
	s_subb_u32 s1, 0, s27
	v_fmamk_f32 v0, v4, 0x4f800000, v0
	v_rcp_f32_e32 v0, v0
	s_nop 0
	v_mul_f32_e32 v0, 0x5f7ffffc, v0
	v_mul_f32_e32 v4, 0x2f800000, v0
	v_trunc_f32_e32 v4, v4
	v_fmamk_f32 v0, v4, 0xcf800000, v0
	v_cvt_u32_f32_e32 v6, v4
	v_cvt_u32_f32_e32 v7, v0
	v_mul_lo_u32 v0, s0, v6
	v_mul_hi_u32 v5, s0, v7
	v_mul_lo_u32 v4, s1, v7
	v_add_u32_e32 v0, v5, v0
	v_mul_lo_u32 v8, s0, v7
	v_add_u32_e32 v9, v0, v4
	v_mul_hi_u32 v5, v7, v9
	v_mul_lo_u32 v4, v7, v9
	v_mul_hi_u32 v0, v7, v8
	v_lshl_add_u64 v[4:5], v[0:1], 0, v[4:5]
	v_mul_hi_u32 v0, v6, v8
	v_mul_lo_u32 v8, v6, v8
	v_add_co_u32_e32 v4, vcc, v4, v8
	v_mul_hi_u32 v10, v6, v9
	s_nop 0
	v_addc_co_u32_e32 v0, vcc, v5, v0, vcc
	v_mul_lo_u32 v4, v6, v9
	s_nop 0
	v_addc_co_u32_e32 v5, vcc, 0, v10, vcc
	v_lshl_add_u64 v[4:5], v[0:1], 0, v[4:5]
	v_add_co_u32_e32 v7, vcc, v7, v4
	v_mul_hi_u32 v4, s0, v7
	s_nop 0
	v_addc_co_u32_e32 v6, vcc, v6, v5, vcc
	v_mul_lo_u32 v0, s0, v6
	v_add_u32_e32 v0, v4, v0
	v_mul_lo_u32 v4, s1, v7
	v_add_u32_e32 v8, v0, v4
	v_mul_lo_u32 v0, s0, v7
	v_mul_hi_u32 v10, v6, v0
	v_mul_lo_u32 v11, v6, v0
	v_mul_hi_u32 v5, v7, v8
	;; [unrolled: 2-line block ×3, first 2 shown]
	v_lshl_add_u64 v[4:5], v[0:1], 0, v[4:5]
	v_add_co_u32_e32 v0, vcc, v4, v11
	v_mul_hi_u32 v9, v6, v8
	s_nop 0
	v_addc_co_u32_e32 v0, vcc, v5, v10, vcc
	v_mul_lo_u32 v4, v6, v8
	s_nop 0
	v_addc_co_u32_e32 v5, vcc, 0, v9, vcc
	v_lshl_add_u64 v[4:5], v[0:1], 0, v[4:5]
	v_add_co_u32_e32 v10, vcc, v7, v4
	v_ashrrev_i32_e32 v4, 31, v3
	s_nop 0
	v_addc_co_u32_e32 v8, vcc, v6, v5, vcc
	v_mov_b32_e32 v5, v4
	v_lshl_add_u64 v[6:7], v[2:3], 0, v[4:5]
	v_xor_b32_e32 v12, v6, v4
	v_xor_b32_e32 v5, v7, v4
	v_mad_u64_u32 v[6:7], s[0:1], v12, v8, 0
	v_mul_hi_u32 v0, v12, v10
	v_lshl_add_u64 v[6:7], v[0:1], 0, v[6:7]
	v_mad_u64_u32 v[10:11], s[0:1], v5, v10, 0
	v_add_co_u32_e32 v0, vcc, v6, v10
	v_mad_u64_u32 v[8:9], s[0:1], v5, v8, 0
	s_nop 0
	v_addc_co_u32_e32 v0, vcc, v7, v11, vcc
	s_nop 1
	v_addc_co_u32_e32 v9, vcc, 0, v9, vcc
	v_lshl_add_u64 v[0:1], v[0:1], 0, v[8:9]
	v_mul_lo_u32 v8, s27, v0
	v_mul_lo_u32 v9, s26, v1
	v_mad_u64_u32 v[6:7], s[0:1], s26, v0, 0
	v_add3_u32 v10, v7, v9, v8
	v_sub_u32_e32 v7, v5, v10
	v_mov_b32_e32 v8, s27
	v_sub_co_u32_e32 v11, vcc, v12, v6
	s_nop 1
	v_subb_co_u32_e64 v6, s[0:1], v7, v8, vcc
	v_subrev_co_u32_e64 v7, s[0:1], s26, v11
	v_subb_co_u32_e32 v5, vcc, v5, v10, vcc
	s_nop 0
	v_subbrev_co_u32_e64 v6, s[0:1], 0, v6, s[0:1]
	v_cmp_le_u32_e64 s[0:1], s27, v6
	v_cmp_le_u32_e32 vcc, s27, v5
	s_nop 0
	v_cndmask_b32_e64 v8, 0, -1, s[0:1]
	v_cmp_le_u32_e64 s[0:1], s26, v7
	s_nop 1
	v_cndmask_b32_e64 v7, 0, -1, s[0:1]
	v_cmp_eq_u32_e64 s[0:1], s27, v6
	s_nop 1
	v_cndmask_b32_e64 v12, v8, v7, s[0:1]
	v_lshl_add_u64 v[6:7], v[0:1], 0, 2
	v_lshl_add_u64 v[8:9], v[0:1], 0, 1
	v_cmp_ne_u32_e64 s[0:1], 0, v12
	s_nop 1
	v_cndmask_b32_e64 v7, v9, v7, s[0:1]
	v_cndmask_b32_e64 v9, 0, -1, vcc
	v_cmp_le_u32_e32 vcc, s26, v11
	s_nop 1
	v_cndmask_b32_e64 v10, 0, -1, vcc
	v_cmp_eq_u32_e32 vcc, s27, v5
	s_nop 1
	v_cndmask_b32_e32 v5, v9, v10, vcc
	v_cmp_ne_u32_e32 vcc, 0, v5
	v_cndmask_b32_e64 v5, v8, v6, s[0:1]
	s_nop 0
	v_cndmask_b32_e32 v0, v0, v5, vcc
	v_xor_b32_e32 v5, s24, v4
	v_cndmask_b32_e32 v1, v1, v7, vcc
	v_xor_b32_e32 v0, v0, v5
	v_xor_b32_e32 v1, v1, v5
	v_sub_co_u32_e32 v4, vcc, v0, v5
	s_nop 1
	v_subb_co_u32_e32 v5, vcc, v1, v5, vcc
.LBB87_2:
	s_or_saveexec_b64 s[0:1], s[2:3]
	s_load_dwordx2 s[2:3], s[12:13], 0x0
	s_xor_b64 exec, exec, s[0:1]
	s_cbranch_execz .LBB87_4
; %bb.3:
	v_cvt_f32_u32_e32 v0, s22
	s_sub_i32 s12, 0, s22
	v_rcp_iflag_f32_e32 v0, v0
	s_nop 0
	v_mul_f32_e32 v0, 0x4f7ffffe, v0
	v_cvt_u32_f32_e32 v0, v0
	v_mul_lo_u32 v1, s12, v0
	v_mul_hi_u32 v1, v0, v1
	v_add_u32_e32 v0, v0, v1
	v_mul_hi_u32 v0, v2, v0
	v_mul_lo_u32 v1, v0, s22
	v_sub_u32_e32 v1, v2, v1
	v_add_u32_e32 v4, 1, v0
	v_subrev_u32_e32 v5, s22, v1
	v_cmp_le_u32_e32 vcc, s22, v1
	s_nop 1
	v_cndmask_b32_e32 v1, v1, v5, vcc
	v_cndmask_b32_e32 v0, v0, v4, vcc
	v_add_u32_e32 v4, 1, v0
	v_cmp_le_u32_e32 vcc, s22, v1
	v_mov_b32_e32 v5, 0
	s_nop 0
	v_cndmask_b32_e32 v4, v0, v4, vcc
.LBB87_4:
	s_or_b64 exec, exec, s[0:1]
	v_mul_lo_u32 v0, v5, s22
	v_mul_lo_u32 v1, v4, s23
	v_mad_u64_u32 v[6:7], s[0:1], v4, s22, 0
	v_add3_u32 v7, v7, v1, v0
	v_sub_co_u32_e32 v0, vcc, v2, v6
	s_waitcnt lgkmcnt(0)
	v_cmp_gt_i64_e64 s[0:1], s[2:3], v[4:5]
	v_subb_co_u32_e32 v1, vcc, v3, v7, vcc
	v_cmp_gt_i64_e32 vcc, s[8:9], v[0:1]
	s_and_b64 s[0:1], vcc, s[0:1]
	s_and_saveexec_b64 s[12:13], s[0:1]
	s_cbranch_execz .LBB87_15
; %bb.5:
	v_mov_b32_e32 v8, s16
	v_mov_b32_e32 v9, s17
	v_lshl_add_u64 v[8:9], v[4:5], 2, v[8:9]
	global_load_dword v10, v[8:9], off
	s_add_u32 s0, s2, -1
	s_addc_u32 s1, s3, -1
	v_cmp_ne_u64_e32 vcc, s[0:1], v[4:5]
                                        ; implicit-def: $vgpr11
	s_and_saveexec_b64 s[0:1], vcc
	s_xor_b64 s[0:1], exec, s[0:1]
	s_cbranch_execz .LBB87_7
; %bb.6:
	global_load_dword v11, v[8:9], off offset:4
.LBB87_7:
	s_andn2_saveexec_b64 s[0:1], s[0:1]
	s_cbranch_execz .LBB87_9
; %bb.8:
	s_load_dwordx2 s[2:3], s[18:19], 0x0
	s_waitcnt vmcnt(0) lgkmcnt(0)
	v_mov_b32_e32 v11, s2
.LBB87_9:
	s_or_b64 exec, exec, s[0:1]
	s_waitcnt vmcnt(0)
	v_cmp_lt_i32_e32 vcc, v10, v11
	v_mov_b32_e32 v8, 0
	s_and_saveexec_b64 s[0:1], vcc
	s_cbranch_execz .LBB87_13
; %bb.10:
	v_ashrrev_i32_e32 v8, 31, v10
	v_mul_lo_u32 v12, s9, v10
	v_mul_lo_u32 v13, s8, v8
	v_mad_u64_u32 v[8:9], s[2:3], s8, v10, 0
	v_add3_u32 v9, v9, v13, v12
	v_lshlrev_b64 v[2:3], 2, v[2:3]
	v_lshl_add_u64 v[2:3], v[8:9], 2, v[2:3]
	v_lshlrev_b64 v[6:7], 2, v[6:7]
	v_sub_co_u32_e32 v2, vcc, v2, v6
	s_lshl_b64 s[12:13], s[8:9], 2
	s_nop 0
	v_subb_co_u32_e32 v3, vcc, v3, v7, vcc
	v_lshl_add_u64 v[2:3], s[14:15], 0, v[2:3]
	s_mov_b64 s[2:3], 0
	v_mov_b32_e32 v8, 0
.LBB87_11:                              ; =>This Inner Loop Header: Depth=1
	global_load_dword v6, v[2:3], off
	v_add_u32_e32 v10, 1, v10
	v_cmp_ge_i32_e32 vcc, v10, v11
	v_lshl_add_u64 v[2:3], v[2:3], 0, s[12:13]
	s_or_b64 s[2:3], vcc, s[2:3]
	s_waitcnt vmcnt(0)
	v_add_f32_e32 v8, v8, v6
	s_andn2_b64 exec, exec, s[2:3]
	s_cbranch_execnz .LBB87_11
; %bb.12:
	s_or_b64 exec, exec, s[2:3]
.LBB87_13:
	s_or_b64 exec, exec, s[0:1]
	v_mov_b32_e32 v2, s10
	v_mov_b32_e32 v3, s11
	v_lshl_add_u64 v[2:3], v[4:5], 2, v[2:3]
	global_load_dword v2, v[2:3], off
	v_mov_b32_e32 v4, s4
	v_mov_b32_e32 v5, s5
	s_waitcnt vmcnt(0)
	v_ashrrev_i32_e32 v3, 31, v2
	v_lshl_add_u64 v[2:3], v[2:3], 2, v[4:5]
	global_load_dword v2, v[2:3], off
	s_waitcnt vmcnt(0)
	v_ashrrev_i32_e32 v3, 31, v2
	v_cmp_ne_u64_e32 vcc, s[20:21], v[2:3]
	s_and_b64 exec, exec, vcc
	s_cbranch_execz .LBB87_15
; %bb.14:
	v_mul_lo_u32 v6, v3, s8
	v_mul_lo_u32 v7, v2, s9
	v_mad_u64_u32 v[2:3], s[0:1], v2, s8, 0
	v_mov_b32_e32 v4, s6
	v_mov_b32_e32 v5, s7
	v_add3_u32 v3, v3, v7, v6
	v_lshl_add_u64 v[2:3], v[2:3], 2, v[4:5]
	v_lshl_add_u64 v[0:1], v[0:1], 2, v[2:3]
	global_store_dword v[0:1], v8, off
.LBB87_15:
	s_endpgm
	.section	.rodata,"a",@progbits
	.p2align	6, 0x0
	.amdhsa_kernel _ZN2at6native12_GLOBAL__N_115sum_and_scatterIfiEEvPKT0_PT_lS5_PKlPKNS_14AccumulateTypeIS6_Lb1EE4typeES5_S9_ll
		.amdhsa_group_segment_fixed_size 0
		.amdhsa_private_segment_fixed_size 0
		.amdhsa_kernarg_size 336
		.amdhsa_user_sgpr_count 2
		.amdhsa_user_sgpr_dispatch_ptr 0
		.amdhsa_user_sgpr_queue_ptr 0
		.amdhsa_user_sgpr_kernarg_segment_ptr 1
		.amdhsa_user_sgpr_dispatch_id 0
		.amdhsa_user_sgpr_kernarg_preload_length 0
		.amdhsa_user_sgpr_kernarg_preload_offset 0
		.amdhsa_user_sgpr_private_segment_size 0
		.amdhsa_uses_dynamic_stack 0
		.amdhsa_enable_private_segment 0
		.amdhsa_system_sgpr_workgroup_id_x 1
		.amdhsa_system_sgpr_workgroup_id_y 0
		.amdhsa_system_sgpr_workgroup_id_z 0
		.amdhsa_system_sgpr_workgroup_info 0
		.amdhsa_system_vgpr_workitem_id 0
		.amdhsa_next_free_vgpr 14
		.amdhsa_next_free_sgpr 28
		.amdhsa_accum_offset 16
		.amdhsa_reserve_vcc 1
		.amdhsa_float_round_mode_32 0
		.amdhsa_float_round_mode_16_64 0
		.amdhsa_float_denorm_mode_32 3
		.amdhsa_float_denorm_mode_16_64 3
		.amdhsa_dx10_clamp 1
		.amdhsa_ieee_mode 1
		.amdhsa_fp16_overflow 0
		.amdhsa_tg_split 0
		.amdhsa_exception_fp_ieee_invalid_op 0
		.amdhsa_exception_fp_denorm_src 0
		.amdhsa_exception_fp_ieee_div_zero 0
		.amdhsa_exception_fp_ieee_overflow 0
		.amdhsa_exception_fp_ieee_underflow 0
		.amdhsa_exception_fp_ieee_inexact 0
		.amdhsa_exception_int_div_zero 0
	.end_amdhsa_kernel
	.section	.text._ZN2at6native12_GLOBAL__N_115sum_and_scatterIfiEEvPKT0_PT_lS5_PKlPKNS_14AccumulateTypeIS6_Lb1EE4typeES5_S9_ll,"axG",@progbits,_ZN2at6native12_GLOBAL__N_115sum_and_scatterIfiEEvPKT0_PT_lS5_PKlPKNS_14AccumulateTypeIS6_Lb1EE4typeES5_S9_ll,comdat
.Lfunc_end87:
	.size	_ZN2at6native12_GLOBAL__N_115sum_and_scatterIfiEEvPKT0_PT_lS5_PKlPKNS_14AccumulateTypeIS6_Lb1EE4typeES5_S9_ll, .Lfunc_end87-_ZN2at6native12_GLOBAL__N_115sum_and_scatterIfiEEvPKT0_PT_lS5_PKlPKNS_14AccumulateTypeIS6_Lb1EE4typeES5_S9_ll
                                        ; -- End function
	.section	.AMDGPU.csdata,"",@progbits
; Kernel info:
; codeLenInByte = 1404
; NumSgprs: 34
; NumVgprs: 14
; NumAgprs: 0
; TotalNumVgprs: 14
; ScratchSize: 0
; MemoryBound: 0
; FloatMode: 240
; IeeeMode: 1
; LDSByteSize: 0 bytes/workgroup (compile time only)
; SGPRBlocks: 4
; VGPRBlocks: 1
; NumSGPRsForWavesPerEU: 34
; NumVGPRsForWavesPerEU: 14
; AccumOffset: 16
; Occupancy: 8
; WaveLimiterHint : 1
; COMPUTE_PGM_RSRC2:SCRATCH_EN: 0
; COMPUTE_PGM_RSRC2:USER_SGPR: 2
; COMPUTE_PGM_RSRC2:TRAP_HANDLER: 0
; COMPUTE_PGM_RSRC2:TGID_X_EN: 1
; COMPUTE_PGM_RSRC2:TGID_Y_EN: 0
; COMPUTE_PGM_RSRC2:TGID_Z_EN: 0
; COMPUTE_PGM_RSRC2:TIDIG_COMP_CNT: 0
; COMPUTE_PGM_RSRC3_GFX90A:ACCUM_OFFSET: 3
; COMPUTE_PGM_RSRC3_GFX90A:TG_SPLIT: 0
	.section	.text._ZN2at6native12_GLOBAL__N_137compute_grad_weight_atomic_accumulateIN3c104HalfEfiEEvPKT1_PKT_S7_llS7_PKlS7_S7_S7_PT0_ll,"axG",@progbits,_ZN2at6native12_GLOBAL__N_137compute_grad_weight_atomic_accumulateIN3c104HalfEfiEEvPKT1_PKT_S7_llS7_PKlS7_S7_S7_PT0_ll,comdat
	.globl	_ZN2at6native12_GLOBAL__N_137compute_grad_weight_atomic_accumulateIN3c104HalfEfiEEvPKT1_PKT_S7_llS7_PKlS7_S7_S7_PT0_ll ; -- Begin function _ZN2at6native12_GLOBAL__N_137compute_grad_weight_atomic_accumulateIN3c104HalfEfiEEvPKT1_PKT_S7_llS7_PKlS7_S7_S7_PT0_ll
	.p2align	8
	.type	_ZN2at6native12_GLOBAL__N_137compute_grad_weight_atomic_accumulateIN3c104HalfEfiEEvPKT1_PKT_S7_llS7_PKlS7_S7_S7_PT0_ll,@function
_ZN2at6native12_GLOBAL__N_137compute_grad_weight_atomic_accumulateIN3c104HalfEfiEEvPKT1_PKT_S7_llS7_PKlS7_S7_S7_PT0_ll: ; @_ZN2at6native12_GLOBAL__N_137compute_grad_weight_atomic_accumulateIN3c104HalfEfiEEvPKT1_PKT_S7_llS7_PKlS7_S7_S7_PT0_ll
; %bb.0:
	s_load_dword s3, s[0:1], 0x74
	s_load_dwordx2 s[20:21], s[0:1], 0x60
	v_mov_b32_e32 v4, 0
	s_waitcnt lgkmcnt(0)
	s_and_b32 s3, s3, 0xffff
	s_mul_i32 s2, s2, s3
	v_add_u32_e32 v2, s2, v0
	v_ashrrev_i32_e32 v3, 31, v2
	v_or_b32_e32 v5, s21, v3
	v_cmp_ne_u64_e32 vcc, 0, v[4:5]
                                        ; implicit-def: $vgpr0_vgpr1
	s_and_saveexec_b64 s[2:3], vcc
	s_xor_b64 s[4:5], exec, s[2:3]
	s_cbranch_execz .LBB88_2
; %bb.1:
	s_ashr_i32 s6, s21, 31
	s_add_u32 s2, s20, s6
	s_mov_b32 s7, s6
	s_addc_u32 s3, s21, s6
	s_xor_b64 s[8:9], s[2:3], s[6:7]
	v_cvt_f32_u32_e32 v0, s8
	v_cvt_f32_u32_e32 v1, s9
	s_sub_u32 s2, 0, s8
	s_subb_u32 s3, 0, s9
	v_mov_b32_e32 v7, v4
	v_fmamk_f32 v0, v1, 0x4f800000, v0
	v_rcp_f32_e32 v0, v0
	s_nop 0
	v_mul_f32_e32 v0, 0x5f7ffffc, v0
	v_mul_f32_e32 v1, 0x2f800000, v0
	v_trunc_f32_e32 v1, v1
	v_fmamk_f32 v0, v1, 0xcf800000, v0
	v_cvt_u32_f32_e32 v5, v1
	v_cvt_u32_f32_e32 v8, v0
	v_mul_lo_u32 v0, s2, v5
	v_mul_hi_u32 v6, s2, v8
	v_mul_lo_u32 v1, s3, v8
	v_add_u32_e32 v0, v6, v0
	v_mul_lo_u32 v9, s2, v8
	v_add_u32_e32 v10, v0, v1
	v_mul_hi_u32 v1, v8, v10
	v_mul_lo_u32 v0, v8, v10
	v_mul_hi_u32 v6, v8, v9
	v_lshl_add_u64 v[0:1], v[6:7], 0, v[0:1]
	v_mul_hi_u32 v7, v5, v9
	v_mul_lo_u32 v9, v5, v9
	v_add_co_u32_e32 v0, vcc, v0, v9
	v_mul_hi_u32 v6, v5, v10
	s_nop 0
	v_addc_co_u32_e32 v0, vcc, v1, v7, vcc
	v_mov_b32_e32 v1, v4
	s_nop 0
	v_addc_co_u32_e32 v7, vcc, 0, v6, vcc
	v_mul_lo_u32 v6, v5, v10
	v_lshl_add_u64 v[0:1], v[0:1], 0, v[6:7]
	v_add_co_u32_e32 v8, vcc, v8, v0
	v_mul_lo_u32 v6, s2, v8
	s_nop 0
	v_addc_co_u32_e32 v5, vcc, v5, v1, vcc
	v_mul_lo_u32 v0, s2, v5
	v_mul_hi_u32 v1, s2, v8
	v_add_u32_e32 v0, v1, v0
	v_mul_lo_u32 v1, s3, v8
	v_add_u32_e32 v9, v0, v1
	v_mul_hi_u32 v11, v5, v6
	v_mul_lo_u32 v12, v5, v6
	v_mul_hi_u32 v1, v8, v9
	v_mul_lo_u32 v0, v8, v9
	v_mul_hi_u32 v6, v8, v6
	v_mov_b32_e32 v7, v4
	v_lshl_add_u64 v[0:1], v[6:7], 0, v[0:1]
	v_add_co_u32_e32 v0, vcc, v0, v12
	v_mul_hi_u32 v10, v5, v9
	s_nop 0
	v_addc_co_u32_e32 v0, vcc, v1, v11, vcc
	v_mul_lo_u32 v6, v5, v9
	s_nop 0
	v_addc_co_u32_e32 v7, vcc, 0, v10, vcc
	v_mov_b32_e32 v1, v4
	v_lshl_add_u64 v[0:1], v[0:1], 0, v[6:7]
	v_add_co_u32_e32 v10, vcc, v8, v0
	v_mov_b32_e32 v0, v3
	s_nop 0
	v_addc_co_u32_e32 v5, vcc, v5, v1, vcc
	v_mov_b32_e32 v1, v3
	v_lshl_add_u64 v[6:7], v[2:3], 0, v[0:1]
	v_xor_b32_e32 v13, v6, v0
	v_xor_b32_e32 v12, v7, v1
	v_mad_u64_u32 v[6:7], s[2:3], v13, v5, 0
	v_mul_hi_u32 v8, v13, v10
	v_mov_b32_e32 v9, v4
	v_lshl_add_u64 v[6:7], v[8:9], 0, v[6:7]
	v_mad_u64_u32 v[10:11], s[2:3], v12, v10, 0
	v_mad_u64_u32 v[8:9], s[2:3], v12, v5, 0
	v_add_co_u32_e32 v5, vcc, v6, v10
	v_xor_b32_e32 v0, s6, v0
	s_nop 0
	v_addc_co_u32_e32 v6, vcc, v7, v11, vcc
	v_mov_b32_e32 v7, v4
	s_nop 0
	v_addc_co_u32_e32 v9, vcc, 0, v9, vcc
	v_lshl_add_u64 v[4:5], v[6:7], 0, v[8:9]
	v_mul_lo_u32 v8, s9, v4
	v_mul_lo_u32 v9, s8, v5
	v_mad_u64_u32 v[6:7], s[2:3], s8, v4, 0
	v_add3_u32 v10, v7, v9, v8
	v_sub_u32_e32 v7, v12, v10
	v_mov_b32_e32 v8, s9
	v_sub_co_u32_e32 v11, vcc, v13, v6
	v_xor_b32_e32 v1, s6, v1
	s_nop 0
	v_subb_co_u32_e64 v6, s[2:3], v7, v8, vcc
	v_subrev_co_u32_e64 v7, s[2:3], s8, v11
	s_nop 1
	v_subbrev_co_u32_e64 v6, s[2:3], 0, v6, s[2:3]
	v_cmp_le_u32_e64 s[2:3], s9, v6
	s_nop 1
	v_cndmask_b32_e64 v8, 0, -1, s[2:3]
	v_cmp_le_u32_e64 s[2:3], s8, v7
	s_nop 1
	v_cndmask_b32_e64 v7, 0, -1, s[2:3]
	v_cmp_eq_u32_e64 s[2:3], s9, v6
	s_nop 1
	v_cndmask_b32_e64 v13, v8, v7, s[2:3]
	v_lshl_add_u64 v[6:7], v[4:5], 0, 2
	v_lshl_add_u64 v[8:9], v[4:5], 0, 1
	v_cmp_ne_u32_e64 s[2:3], 0, v13
	s_nop 1
	v_cndmask_b32_e64 v7, v9, v7, s[2:3]
	v_subb_co_u32_e32 v9, vcc, v12, v10, vcc
	v_cmp_le_u32_e32 vcc, s9, v9
	v_cndmask_b32_e64 v6, v8, v6, s[2:3]
	s_nop 0
	v_cndmask_b32_e64 v10, 0, -1, vcc
	v_cmp_le_u32_e32 vcc, s8, v11
	s_nop 1
	v_cndmask_b32_e64 v11, 0, -1, vcc
	v_cmp_eq_u32_e32 vcc, s9, v9
	s_nop 1
	v_cndmask_b32_e32 v9, v10, v11, vcc
	v_cmp_ne_u32_e32 vcc, 0, v9
	s_nop 1
	v_cndmask_b32_e32 v4, v4, v6, vcc
	v_cndmask_b32_e32 v5, v5, v7, vcc
	v_xor_b32_e32 v4, v4, v0
	v_xor_b32_e32 v5, v5, v1
	v_sub_co_u32_e32 v0, vcc, v4, v0
	s_nop 1
	v_subb_co_u32_e32 v1, vcc, v5, v1, vcc
.LBB88_2:
	s_or_saveexec_b64 s[2:3], s[4:5]
	s_load_dwordx16 s[4:19], s[0:1], 0x0
	s_xor_b64 exec, exec, s[2:3]
	s_cbranch_execz .LBB88_4
; %bb.3:
	v_cvt_f32_u32_e32 v0, s20
	s_waitcnt lgkmcnt(0)
	s_sub_i32 s11, 0, s20
	v_rcp_iflag_f32_e32 v0, v0
	s_nop 0
	v_mul_f32_e32 v0, 0x4f7ffffe, v0
	v_cvt_u32_f32_e32 v0, v0
	v_mul_lo_u32 v1, s11, v0
	v_mul_hi_u32 v1, v0, v1
	v_add_u32_e32 v0, v0, v1
	v_mul_hi_u32 v0, v2, v0
	v_mul_lo_u32 v1, v0, s20
	v_sub_u32_e32 v1, v2, v1
	v_add_u32_e32 v4, 1, v0
	v_subrev_u32_e32 v5, s20, v1
	v_cmp_le_u32_e32 vcc, s20, v1
	s_nop 1
	v_cndmask_b32_e32 v1, v1, v5, vcc
	v_cndmask_b32_e32 v0, v0, v4, vcc
	v_add_u32_e32 v4, 1, v0
	v_cmp_le_u32_e32 vcc, s20, v1
	v_mov_b32_e32 v1, 0
	s_nop 0
	v_cndmask_b32_e32 v0, v0, v4, vcc
.LBB88_4:
	s_or_b64 exec, exec, s[2:3]
	v_mul_lo_u32 v1, v1, s20
	v_mul_lo_u32 v6, v0, s21
	v_mad_u64_u32 v[4:5], s[2:3], v0, s20, 0
	v_add3_u32 v1, v5, v6, v1
	v_sub_co_u32_e32 v2, vcc, v2, v4
	s_nop 1
	v_subb_co_u32_e32 v3, vcc, v3, v1, vcc
	s_waitcnt lgkmcnt(0)
	v_cmp_gt_i64_e32 vcc, s[12:13], v[2:3]
	s_and_saveexec_b64 s[2:3], vcc
	s_cbranch_execz .LBB88_19
; %bb.5:
	s_load_dwordx2 s[2:3], s[16:17], 0x0
	v_ashrrev_i32_e32 v1, 31, v0
	s_waitcnt lgkmcnt(0)
	v_cmp_gt_i64_e32 vcc, s[2:3], v[0:1]
	s_and_b64 exec, exec, vcc
	s_cbranch_execz .LBB88_19
; %bb.6:
	v_lshl_add_u64 v[4:5], v[0:1], 2, s[14:15]
	global_load_dword v4, v[4:5], off
	s_add_u32 s2, s2, -1
	s_addc_u32 s3, s3, -1
	v_cmp_ne_u64_e32 vcc, s[2:3], v[0:1]
                                        ; implicit-def: $vgpr12
	s_and_saveexec_b64 s[2:3], vcc
	s_xor_b64 s[2:3], exec, s[2:3]
	s_cbranch_execz .LBB88_8
; %bb.7:
	s_mov_b32 s16, 0
	v_mov_b32_e32 v6, 0
	v_mov_b32_e32 v7, v0
	s_mov_b32 s17, 1
	v_lshl_add_u64 v[6:7], v[6:7], 0, s[16:17]
	v_ashrrev_i64 v[6:7], 30, v[6:7]
	v_lshl_add_u64 v[6:7], s[14:15], 0, v[6:7]
	global_load_dword v12, v[6:7], off
.LBB88_8:
	s_or_saveexec_b64 s[2:3], s[2:3]
	s_load_dwordx8 s[20:27], s[0:1], 0x40
	s_xor_b64 exec, exec, s[2:3]
	s_cbranch_execz .LBB88_10
; %bb.9:
	s_waitcnt vmcnt(0)
	v_mov_b32_e32 v12, s10
.LBB88_10:
	s_or_b64 exec, exec, s[2:3]
	s_waitcnt vmcnt(0)
	v_cmp_lt_i32_e32 vcc, v4, v12
	v_mov_b32_e32 v5, 0
	s_and_saveexec_b64 s[2:3], vcc
	s_cbranch_execz .LBB88_17
; %bb.11:
	s_cmp_lg_u64 s[8:9], 0
	v_ashrrev_i32_e32 v5, 31, v4
	s_cselect_b64 s[0:1], -1, 0
	v_mov_b32_e32 v6, s6
	v_mov_b32_e32 v7, s7
	v_lshlrev_b64 v[10:11], 2, v[4:5]
	v_cndmask_b32_e64 v13, 0, 1, s[0:1]
	v_lshl_add_u64 v[6:7], v[2:3], 1, v[6:7]
	s_mov_b64 s[6:7], 0
	v_lshl_add_u64 v[8:9], s[4:5], 0, v[10:11]
	v_lshl_add_u64 v[10:11], s[8:9], 0, v[10:11]
	v_mov_b32_e32 v5, 0
	v_cmp_ne_u32_e64 s[0:1], 1, v13
	s_branch .LBB88_14
.LBB88_12:                              ;   in Loop: Header=BB88_14 Depth=1
	global_load_dword v14, v[10:11], off
	s_waitcnt vmcnt(0)
	v_cvt_f32_i32_e32 v14, v14
	v_div_scale_f32 v15, s[4:5], v14, v14, 1.0
	v_rcp_f32_e32 v16, v15
	v_div_scale_f32 v17, vcc, 1.0, v14, 1.0
	v_fma_f32 v18, -v15, v16, 1.0
	v_fmac_f32_e32 v16, v18, v16
	v_mul_f32_e32 v18, v17, v16
	v_fma_f32 v19, -v15, v18, v17
	v_fmac_f32_e32 v18, v19, v16
	v_fma_f32 v15, -v15, v18, v17
	v_div_fmas_f32 v15, v15, v16, v18
	v_div_fixup_f32 v14, v15, v14, 1.0
.LBB88_13:                              ;   in Loop: Header=BB88_14 Depth=1
	s_waitcnt vmcnt(0)
	v_ashrrev_i32_e32 v15, 31, v13
	v_mul_lo_u32 v18, v13, s13
	v_mul_lo_u32 v15, v15, s12
	v_mad_u64_u32 v[16:17], s[4:5], v13, s12, 0
	v_add3_u32 v17, v17, v18, v15
	v_lshl_add_u64 v[16:17], v[16:17], 1, v[6:7]
	global_load_ushort v13, v[16:17], off
	v_add_u32_e32 v4, 1, v4
	v_cmp_ge_i32_e32 vcc, v4, v12
	v_lshl_add_u64 v[8:9], v[8:9], 0, 4
	s_or_b64 s[6:7], vcc, s[6:7]
	v_lshl_add_u64 v[10:11], v[10:11], 0, 4
	s_waitcnt vmcnt(0)
	v_fma_mix_f32 v5, v14, v13, v5 op_sel_hi:[0,1,0]
	s_andn2_b64 exec, exec, s[6:7]
	s_cbranch_execz .LBB88_16
.LBB88_14:                              ; =>This Inner Loop Header: Depth=1
	global_load_dword v13, v[8:9], off
	s_and_b64 vcc, exec, s[0:1]
	s_cbranch_vccz .LBB88_12
; %bb.15:                               ;   in Loop: Header=BB88_14 Depth=1
	v_mov_b32_e32 v14, 1.0
	s_branch .LBB88_13
.LBB88_16:
	s_or_b64 exec, exec, s[6:7]
.LBB88_17:
	s_or_b64 exec, exec, s[2:3]
	s_waitcnt lgkmcnt(0)
	v_mov_b32_e32 v6, s20
	v_mov_b32_e32 v7, s21
	v_lshl_add_u64 v[0:1], v[0:1], 2, v[6:7]
	global_load_dword v0, v[0:1], off
	v_mov_b32_e32 v6, s22
	v_mov_b32_e32 v7, s23
	s_waitcnt vmcnt(0)
	v_ashrrev_i32_e32 v1, 31, v0
	v_lshl_add_u64 v[0:1], v[0:1], 2, v[6:7]
	global_load_dword v0, v[0:1], off
	v_mov_b32_e32 v6, s18
	v_mov_b32_e32 v7, s19
	s_waitcnt vmcnt(0)
	v_ashrrev_i32_e32 v1, 31, v0
	v_lshl_add_u64 v[0:1], v[0:1], 2, v[6:7]
	global_load_dword v0, v[0:1], off
	s_waitcnt vmcnt(0)
	v_ashrrev_i32_e32 v1, 31, v0
	v_cmp_ne_u64_e32 vcc, s[26:27], v[0:1]
	s_and_b64 exec, exec, vcc
	s_cbranch_execz .LBB88_19
; %bb.18:
	v_mul_lo_u32 v4, v1, s12
	v_mul_lo_u32 v8, v0, s13
	v_mad_u64_u32 v[0:1], s[0:1], v0, s12, 0
	v_mov_b32_e32 v6, s24
	v_mov_b32_e32 v7, s25
	v_add3_u32 v1, v1, v8, v4
	v_lshl_add_u64 v[0:1], v[0:1], 2, v[6:7]
	v_lshl_add_u64 v[0:1], v[2:3], 2, v[0:1]
	global_atomic_add_f32 v[0:1], v5, off
.LBB88_19:
	s_endpgm
	.section	.rodata,"a",@progbits
	.p2align	6, 0x0
	.amdhsa_kernel _ZN2at6native12_GLOBAL__N_137compute_grad_weight_atomic_accumulateIN3c104HalfEfiEEvPKT1_PKT_S7_llS7_PKlS7_S7_S7_PT0_ll
		.amdhsa_group_segment_fixed_size 0
		.amdhsa_private_segment_fixed_size 0
		.amdhsa_kernarg_size 360
		.amdhsa_user_sgpr_count 2
		.amdhsa_user_sgpr_dispatch_ptr 0
		.amdhsa_user_sgpr_queue_ptr 0
		.amdhsa_user_sgpr_kernarg_segment_ptr 1
		.amdhsa_user_sgpr_dispatch_id 0
		.amdhsa_user_sgpr_kernarg_preload_length 0
		.amdhsa_user_sgpr_kernarg_preload_offset 0
		.amdhsa_user_sgpr_private_segment_size 0
		.amdhsa_uses_dynamic_stack 0
		.amdhsa_enable_private_segment 0
		.amdhsa_system_sgpr_workgroup_id_x 1
		.amdhsa_system_sgpr_workgroup_id_y 0
		.amdhsa_system_sgpr_workgroup_id_z 0
		.amdhsa_system_sgpr_workgroup_info 0
		.amdhsa_system_vgpr_workitem_id 0
		.amdhsa_next_free_vgpr 20
		.amdhsa_next_free_sgpr 28
		.amdhsa_accum_offset 20
		.amdhsa_reserve_vcc 1
		.amdhsa_float_round_mode_32 0
		.amdhsa_float_round_mode_16_64 0
		.amdhsa_float_denorm_mode_32 3
		.amdhsa_float_denorm_mode_16_64 3
		.amdhsa_dx10_clamp 1
		.amdhsa_ieee_mode 1
		.amdhsa_fp16_overflow 0
		.amdhsa_tg_split 0
		.amdhsa_exception_fp_ieee_invalid_op 0
		.amdhsa_exception_fp_denorm_src 0
		.amdhsa_exception_fp_ieee_div_zero 0
		.amdhsa_exception_fp_ieee_overflow 0
		.amdhsa_exception_fp_ieee_underflow 0
		.amdhsa_exception_fp_ieee_inexact 0
		.amdhsa_exception_int_div_zero 0
	.end_amdhsa_kernel
	.section	.text._ZN2at6native12_GLOBAL__N_137compute_grad_weight_atomic_accumulateIN3c104HalfEfiEEvPKT1_PKT_S7_llS7_PKlS7_S7_S7_PT0_ll,"axG",@progbits,_ZN2at6native12_GLOBAL__N_137compute_grad_weight_atomic_accumulateIN3c104HalfEfiEEvPKT1_PKT_S7_llS7_PKlS7_S7_S7_PT0_ll,comdat
.Lfunc_end88:
	.size	_ZN2at6native12_GLOBAL__N_137compute_grad_weight_atomic_accumulateIN3c104HalfEfiEEvPKT1_PKT_S7_llS7_PKlS7_S7_S7_PT0_ll, .Lfunc_end88-_ZN2at6native12_GLOBAL__N_137compute_grad_weight_atomic_accumulateIN3c104HalfEfiEEvPKT1_PKT_S7_llS7_PKlS7_S7_S7_PT0_ll
                                        ; -- End function
	.section	.AMDGPU.csdata,"",@progbits
; Kernel info:
; codeLenInByte = 1680
; NumSgprs: 34
; NumVgprs: 20
; NumAgprs: 0
; TotalNumVgprs: 20
; ScratchSize: 0
; MemoryBound: 0
; FloatMode: 240
; IeeeMode: 1
; LDSByteSize: 0 bytes/workgroup (compile time only)
; SGPRBlocks: 4
; VGPRBlocks: 2
; NumSGPRsForWavesPerEU: 34
; NumVGPRsForWavesPerEU: 20
; AccumOffset: 20
; Occupancy: 8
; WaveLimiterHint : 1
; COMPUTE_PGM_RSRC2:SCRATCH_EN: 0
; COMPUTE_PGM_RSRC2:USER_SGPR: 2
; COMPUTE_PGM_RSRC2:TRAP_HANDLER: 0
; COMPUTE_PGM_RSRC2:TGID_X_EN: 1
; COMPUTE_PGM_RSRC2:TGID_Y_EN: 0
; COMPUTE_PGM_RSRC2:TGID_Z_EN: 0
; COMPUTE_PGM_RSRC2:TIDIG_COMP_CNT: 0
; COMPUTE_PGM_RSRC3_GFX90A:ACCUM_OFFSET: 4
; COMPUTE_PGM_RSRC3_GFX90A:TG_SPLIT: 0
	.section	.text._ZN2at6native12_GLOBAL__N_124compute_grad_weight_bagsIN3c104HalfEiEEvPKT0_PKT_S7_S7_lliS7_SA_lS7_PKlPNS_14AccumulateTypeIS8_Lb1EE4typeEl,"axG",@progbits,_ZN2at6native12_GLOBAL__N_124compute_grad_weight_bagsIN3c104HalfEiEEvPKT0_PKT_S7_S7_lliS7_SA_lS7_PKlPNS_14AccumulateTypeIS8_Lb1EE4typeEl,comdat
	.globl	_ZN2at6native12_GLOBAL__N_124compute_grad_weight_bagsIN3c104HalfEiEEvPKT0_PKT_S7_S7_lliS7_SA_lS7_PKlPNS_14AccumulateTypeIS8_Lb1EE4typeEl ; -- Begin function _ZN2at6native12_GLOBAL__N_124compute_grad_weight_bagsIN3c104HalfEiEEvPKT0_PKT_S7_S7_lliS7_SA_lS7_PKlPNS_14AccumulateTypeIS8_Lb1EE4typeEl
	.p2align	8
	.type	_ZN2at6native12_GLOBAL__N_124compute_grad_weight_bagsIN3c104HalfEiEEvPKT0_PKT_S7_S7_lliS7_SA_lS7_PKlPNS_14AccumulateTypeIS8_Lb1EE4typeEl,@function
_ZN2at6native12_GLOBAL__N_124compute_grad_weight_bagsIN3c104HalfEiEEvPKT0_PKT_S7_S7_lliS7_SA_lS7_PKlPNS_14AccumulateTypeIS8_Lb1EE4typeEl: ; @_ZN2at6native12_GLOBAL__N_124compute_grad_weight_bagsIN3c104HalfEiEEvPKT0_PKT_S7_S7_lliS7_SA_lS7_PKlPNS_14AccumulateTypeIS8_Lb1EE4typeEl
; %bb.0:
	s_load_dword s3, s[0:1], 0x7c
	s_load_dwordx4 s[4:7], s[0:1], 0x58
	s_load_dwordx2 s[8:9], s[0:1], 0x68
	v_mov_b32_e32 v1, 0
	v_mov_b32_e32 v2, s2
	s_waitcnt lgkmcnt(0)
	s_and_b32 s3, s3, 0xffff
	v_mad_u64_u32 v[4:5], s[2:3], s3, v2, v[0:1]
	v_or_b32_e32 v3, s9, v5
	v_mov_b32_e32 v2, v1
	v_cmp_ne_u64_e32 vcc, 0, v[2:3]
                                        ; implicit-def: $vgpr2_vgpr3
	s_and_saveexec_b64 s[2:3], vcc
	s_xor_b64 s[10:11], exec, s[2:3]
	s_cbranch_execz .LBB89_2
; %bb.1:
	s_ashr_i32 s12, s9, 31
	s_add_u32 s2, s8, s12
	s_mov_b32 s13, s12
	s_addc_u32 s3, s9, s12
	s_xor_b64 s[14:15], s[2:3], s[12:13]
	v_cvt_f32_u32_e32 v0, s14
	v_cvt_f32_u32_e32 v2, s15
	s_sub_u32 s2, 0, s14
	s_subb_u32 s3, 0, s15
	v_fmamk_f32 v0, v2, 0x4f800000, v0
	v_rcp_f32_e32 v0, v0
	s_nop 0
	v_mul_f32_e32 v0, 0x5f7ffffc, v0
	v_mul_f32_e32 v2, 0x2f800000, v0
	v_trunc_f32_e32 v2, v2
	v_fmamk_f32 v0, v2, 0xcf800000, v0
	v_cvt_u32_f32_e32 v6, v2
	v_cvt_u32_f32_e32 v7, v0
	v_mul_lo_u32 v0, s2, v6
	v_mul_hi_u32 v3, s2, v7
	v_mul_lo_u32 v2, s3, v7
	v_add_u32_e32 v0, v3, v0
	v_mul_lo_u32 v8, s2, v7
	v_add_u32_e32 v9, v0, v2
	v_mul_hi_u32 v3, v7, v9
	v_mul_lo_u32 v2, v7, v9
	v_mul_hi_u32 v0, v7, v8
	v_lshl_add_u64 v[2:3], v[0:1], 0, v[2:3]
	v_mul_hi_u32 v0, v6, v8
	v_mul_lo_u32 v8, v6, v8
	v_add_co_u32_e32 v2, vcc, v2, v8
	v_mul_hi_u32 v10, v6, v9
	s_nop 0
	v_addc_co_u32_e32 v0, vcc, v3, v0, vcc
	v_mul_lo_u32 v2, v6, v9
	s_nop 0
	v_addc_co_u32_e32 v3, vcc, 0, v10, vcc
	v_lshl_add_u64 v[2:3], v[0:1], 0, v[2:3]
	v_add_co_u32_e32 v7, vcc, v7, v2
	v_mul_hi_u32 v2, s2, v7
	s_nop 0
	v_addc_co_u32_e32 v6, vcc, v6, v3, vcc
	v_mul_lo_u32 v0, s2, v6
	v_add_u32_e32 v0, v2, v0
	v_mul_lo_u32 v2, s3, v7
	v_add_u32_e32 v8, v0, v2
	v_mul_lo_u32 v0, s2, v7
	v_mul_hi_u32 v10, v6, v0
	v_mul_lo_u32 v11, v6, v0
	v_mul_hi_u32 v3, v7, v8
	;; [unrolled: 2-line block ×3, first 2 shown]
	v_lshl_add_u64 v[2:3], v[0:1], 0, v[2:3]
	v_add_co_u32_e32 v0, vcc, v2, v11
	v_mul_hi_u32 v9, v6, v8
	s_nop 0
	v_addc_co_u32_e32 v0, vcc, v3, v10, vcc
	v_mul_lo_u32 v2, v6, v8
	s_nop 0
	v_addc_co_u32_e32 v3, vcc, 0, v9, vcc
	v_lshl_add_u64 v[2:3], v[0:1], 0, v[2:3]
	v_add_co_u32_e32 v10, vcc, v7, v2
	v_ashrrev_i32_e32 v2, 31, v5
	s_nop 0
	v_addc_co_u32_e32 v8, vcc, v6, v3, vcc
	v_mov_b32_e32 v3, v2
	v_lshl_add_u64 v[6:7], v[4:5], 0, v[2:3]
	v_xor_b32_e32 v12, v6, v2
	v_xor_b32_e32 v3, v7, v2
	v_mad_u64_u32 v[6:7], s[2:3], v12, v8, 0
	v_mul_hi_u32 v0, v12, v10
	v_lshl_add_u64 v[6:7], v[0:1], 0, v[6:7]
	v_mad_u64_u32 v[10:11], s[2:3], v3, v10, 0
	v_add_co_u32_e32 v0, vcc, v6, v10
	v_mad_u64_u32 v[8:9], s[2:3], v3, v8, 0
	s_nop 0
	v_addc_co_u32_e32 v0, vcc, v7, v11, vcc
	s_nop 1
	v_addc_co_u32_e32 v9, vcc, 0, v9, vcc
	v_lshl_add_u64 v[0:1], v[0:1], 0, v[8:9]
	v_mul_lo_u32 v8, s15, v0
	v_mul_lo_u32 v9, s14, v1
	v_mad_u64_u32 v[6:7], s[2:3], s14, v0, 0
	v_add3_u32 v10, v7, v9, v8
	v_sub_u32_e32 v7, v3, v10
	v_mov_b32_e32 v8, s15
	v_sub_co_u32_e32 v11, vcc, v12, v6
	s_nop 1
	v_subb_co_u32_e64 v6, s[2:3], v7, v8, vcc
	v_subrev_co_u32_e64 v7, s[2:3], s14, v11
	v_subb_co_u32_e32 v3, vcc, v3, v10, vcc
	s_nop 0
	v_subbrev_co_u32_e64 v6, s[2:3], 0, v6, s[2:3]
	v_cmp_le_u32_e64 s[2:3], s15, v6
	v_cmp_le_u32_e32 vcc, s15, v3
	s_nop 0
	v_cndmask_b32_e64 v8, 0, -1, s[2:3]
	v_cmp_le_u32_e64 s[2:3], s14, v7
	s_nop 1
	v_cndmask_b32_e64 v7, 0, -1, s[2:3]
	v_cmp_eq_u32_e64 s[2:3], s15, v6
	s_nop 1
	v_cndmask_b32_e64 v12, v8, v7, s[2:3]
	v_lshl_add_u64 v[6:7], v[0:1], 0, 2
	v_lshl_add_u64 v[8:9], v[0:1], 0, 1
	v_cmp_ne_u32_e64 s[2:3], 0, v12
	s_nop 1
	v_cndmask_b32_e64 v7, v9, v7, s[2:3]
	v_cndmask_b32_e64 v9, 0, -1, vcc
	v_cmp_le_u32_e32 vcc, s14, v11
	s_nop 1
	v_cndmask_b32_e64 v10, 0, -1, vcc
	v_cmp_eq_u32_e32 vcc, s15, v3
	s_nop 1
	v_cndmask_b32_e32 v3, v9, v10, vcc
	v_cmp_ne_u32_e32 vcc, 0, v3
	v_cndmask_b32_e64 v3, v8, v6, s[2:3]
	s_nop 0
	v_cndmask_b32_e32 v0, v0, v3, vcc
	v_xor_b32_e32 v3, s12, v2
	v_cndmask_b32_e32 v1, v1, v7, vcc
	v_xor_b32_e32 v0, v0, v3
	v_xor_b32_e32 v1, v1, v3
	v_sub_co_u32_e32 v2, vcc, v0, v3
	s_nop 1
	v_subb_co_u32_e32 v3, vcc, v1, v3, vcc
.LBB89_2:
	s_or_saveexec_b64 s[2:3], s[10:11]
	s_load_dwordx2 s[4:5], s[4:5], 0x0
	s_xor_b64 exec, exec, s[2:3]
	s_cbranch_execz .LBB89_4
; %bb.3:
	v_cvt_f32_u32_e32 v0, s8
	s_sub_i32 s10, 0, s8
	v_rcp_iflag_f32_e32 v0, v0
	s_nop 0
	v_mul_f32_e32 v0, 0x4f7ffffe, v0
	v_cvt_u32_f32_e32 v0, v0
	v_mul_lo_u32 v1, s10, v0
	v_mul_hi_u32 v1, v0, v1
	v_add_u32_e32 v0, v0, v1
	v_mul_hi_u32 v0, v4, v0
	v_mul_lo_u32 v1, v0, s8
	v_sub_u32_e32 v1, v4, v1
	v_add_u32_e32 v2, 1, v0
	v_subrev_u32_e32 v3, s8, v1
	v_cmp_le_u32_e32 vcc, s8, v1
	s_nop 1
	v_cndmask_b32_e32 v1, v1, v3, vcc
	v_cndmask_b32_e32 v0, v0, v2, vcc
	v_add_u32_e32 v2, 1, v0
	v_cmp_le_u32_e32 vcc, s8, v1
	v_mov_b32_e32 v3, 0
	s_nop 0
	v_cndmask_b32_e32 v2, v0, v2, vcc
.LBB89_4:
	s_or_b64 exec, exec, s[2:3]
	s_load_dwordx4 s[24:27], s[0:1], 0x20
	v_mul_lo_u32 v6, v3, s8
	v_mul_lo_u32 v7, v2, s9
	v_mad_u64_u32 v[0:1], s[2:3], v2, s8, 0
	v_add3_u32 v1, v1, v7, v6
	v_sub_co_u32_e32 v0, vcc, v4, v0
	s_waitcnt lgkmcnt(0)
	v_cmp_gt_i64_e64 s[2:3], s[4:5], v[2:3]
	v_subb_co_u32_e32 v1, vcc, v5, v1, vcc
	v_cmp_gt_i64_e32 vcc, s[26:27], v[0:1]
	s_and_b64 s[2:3], vcc, s[2:3]
	s_and_saveexec_b64 s[8:9], s[2:3]
	s_cbranch_execz .LBB89_20
; %bb.5:
	s_load_dwordx8 s[8:15], s[0:1], 0x38
	s_load_dwordx8 s[16:23], s[0:1], 0x0
	s_add_u32 s2, s4, -1
	s_addc_u32 s3, s5, -1
	v_cmp_ne_u64_e32 vcc, s[2:3], v[2:3]
	s_waitcnt lgkmcnt(0)
	v_mov_b32_e32 v4, s14
	v_mov_b32_e32 v5, s15
	v_lshl_add_u64 v[6:7], v[2:3], 2, v[4:5]
	global_load_dword v4, v[6:7], off
                                        ; implicit-def: $vgpr18
	s_and_saveexec_b64 s[2:3], vcc
	s_xor_b64 s[2:3], exec, s[2:3]
	s_cbranch_execz .LBB89_7
; %bb.6:
	global_load_dword v18, v[6:7], off offset:4
.LBB89_7:
	s_andn2_saveexec_b64 s[2:3], s[2:3]
	s_cbranch_execz .LBB89_9
; %bb.8:
	s_waitcnt vmcnt(0)
	v_mov_b32_e32 v18, s24
.LBB89_9:
	s_or_b64 exec, exec, s[2:3]
	s_waitcnt vmcnt(0)
	v_cmp_lt_i32_e32 vcc, v4, v18
	v_mov_b32_e32 v5, 0
	s_and_saveexec_b64 s[14:15], vcc
	s_cbranch_execz .LBB89_19
; %bb.10:
	s_load_dword s4, s[0:1], 0x30
	s_cmp_lg_u64 s[22:23], 0
	s_cselect_b64 s[0:1], -1, 0
	s_cmp_lg_u64 s[10:11], 0
	s_cselect_b64 s[2:3], -1, 0
	s_waitcnt lgkmcnt(0)
	s_cmp_lg_u32 s4, 0
	v_cndmask_b32_e64 v12, 0, 1, s[0:1]
	v_ashrrev_i32_e32 v5, 31, v4
	v_cmp_ne_u32_e64 s[0:1], 1, v12
	v_cndmask_b32_e64 v12, 0, 1, s[2:3]
	s_cselect_b64 s[4:5], -1, 0
	v_mov_b32_e32 v6, s18
	v_mov_b32_e32 v7, s19
	v_lshlrev_b64 v[10:11], 2, v[4:5]
	v_cmp_ne_u32_e64 s[2:3], 1, v12
	v_cndmask_b32_e64 v12, 0, 1, s[4:5]
	s_mov_b64 s[18:19], 0
	v_lshl_add_u64 v[6:7], v[0:1], 1, v[6:7]
	v_lshl_add_u64 v[8:9], s[16:17], 0, v[10:11]
	;; [unrolled: 1-line block ×3, first 2 shown]
	v_mov_b32_e32 v5, 0
	v_cmp_ne_u32_e64 s[4:5], 1, v12
	s_branch .LBB89_12
.LBB89_11:                              ;   in Loop: Header=BB89_12 Depth=1
	v_add_u32_e32 v4, 1, v4
	v_cmp_ge_i32_e32 vcc, v4, v18
	v_fmac_f32_e32 v5, v16, v14
	v_lshl_add_u64 v[8:9], v[8:9], 0, 4
	s_or_b64 s[18:19], vcc, s[18:19]
	v_lshl_add_u64 v[10:11], v[10:11], 0, 4
	s_andn2_b64 exec, exec, s[18:19]
	s_cbranch_execz .LBB89_18
.LBB89_12:                              ; =>This Inner Loop Header: Depth=1
	global_load_dword v14, v[8:9], off
	s_and_b64 vcc, exec, s[0:1]
	s_waitcnt vmcnt(0)
	v_ashrrev_i32_e32 v15, 31, v14
	v_lshl_add_u64 v[12:13], v[14:15], 2, s[20:21]
	global_load_dword v12, v[12:13], off
	s_cbranch_vccnz .LBB89_17
; %bb.13:                               ;   in Loop: Header=BB89_12 Depth=1
	global_load_dword v13, v[10:11], off
	s_waitcnt vmcnt(0)
	v_cvt_f64_i32_e32 v[16:17], v13
	v_div_scale_f64 v[20:21], s[16:17], v[16:17], v[16:17], 1.0
	v_rcp_f64_e32 v[22:23], v[20:21]
	v_div_scale_f64 v[24:25], vcc, 1.0, v[16:17], 1.0
	v_fma_f64 v[26:27], -v[20:21], v[22:23], 1.0
	v_fmac_f64_e32 v[22:23], v[22:23], v[26:27]
	v_fma_f64 v[26:27], -v[20:21], v[22:23], 1.0
	v_fmac_f64_e32 v[22:23], v[22:23], v[26:27]
	v_mul_f64 v[26:27], v[24:25], v[22:23]
	v_fma_f64 v[20:21], -v[20:21], v[26:27], v[24:25]
	v_div_fmas_f64 v[20:21], v[20:21], v[22:23], v[26:27]
	v_div_fixup_f64 v[16:17], v[20:21], v[16:17], 1.0
	s_and_b64 vcc, exec, s[2:3]
	v_cvt_f32_f64_e32 v16, v[16:17]
	s_cbranch_vccnz .LBB89_15
.LBB89_14:                              ;   in Loop: Header=BB89_12 Depth=1
	v_mul_lo_u32 v13, v15, s12
	v_mul_lo_u32 v17, v14, s13
	v_mad_u64_u32 v[14:15], s[16:17], v14, s12, 0
	v_add3_u32 v15, v15, v17, v13
	v_lshl_add_u64 v[14:15], v[14:15], 1, s[10:11]
	global_load_ushort v13, v[14:15], off
	s_waitcnt vmcnt(0)
	v_cvt_f32_f16_e32 v13, v13
	v_mul_f32_e32 v16, v16, v13
.LBB89_15:                              ;   in Loop: Header=BB89_12 Depth=1
	s_waitcnt vmcnt(0)
	v_mul_lo_u32 v14, v12, s26
	v_ashrrev_i32_e32 v15, 31, v14
	v_lshl_add_u64 v[14:15], v[14:15], 1, v[6:7]
	global_load_ushort v13, v[14:15], off
	s_and_b64 vcc, exec, s[4:5]
	s_waitcnt vmcnt(0)
	v_cvt_f32_f16_e32 v14, v13
	s_cbranch_vccnz .LBB89_11
; %bb.16:                               ;   in Loop: Header=BB89_12 Depth=1
	v_ashrrev_i32_e32 v13, 31, v12
	v_lshl_add_u64 v[12:13], v[12:13], 2, s[8:9]
	global_load_dword v12, v[12:13], off
	s_waitcnt vmcnt(0)
	v_cvt_f32_i32_e32 v12, v12
	v_div_scale_f32 v13, s[16:17], v12, v12, v14
	v_rcp_f32_e32 v15, v13
	v_div_scale_f32 v17, vcc, v14, v12, v14
	v_fma_f32 v19, -v13, v15, 1.0
	v_fmac_f32_e32 v15, v19, v15
	v_mul_f32_e32 v19, v17, v15
	v_fma_f32 v20, -v13, v19, v17
	v_fmac_f32_e32 v19, v20, v15
	v_fma_f32 v13, -v13, v19, v17
	v_div_fmas_f32 v13, v13, v15, v19
	v_div_fixup_f32 v14, v13, v12, v14
	s_branch .LBB89_11
.LBB89_17:                              ;   in Loop: Header=BB89_12 Depth=1
	v_mov_b64_e32 v[16:17], 1.0
	s_and_b64 vcc, exec, s[2:3]
	v_cvt_f32_f64_e32 v16, v[16:17]
	s_cbranch_vccz .LBB89_14
	s_branch .LBB89_15
.LBB89_18:
	s_or_b64 exec, exec, s[18:19]
.LBB89_19:
	s_or_b64 exec, exec, s[14:15]
	v_mul_lo_u32 v4, v3, s26
	v_mul_lo_u32 v8, v2, s27
	v_mad_u64_u32 v[2:3], s[0:1], v2, s26, 0
	v_mov_b32_e32 v6, s6
	v_mov_b32_e32 v7, s7
	v_add3_u32 v3, v3, v8, v4
	v_lshl_add_u64 v[2:3], v[2:3], 2, v[6:7]
	v_lshl_add_u64 v[0:1], v[0:1], 2, v[2:3]
	global_store_dword v[0:1], v5, off
.LBB89_20:
	s_endpgm
	.section	.rodata,"a",@progbits
	.p2align	6, 0x0
	.amdhsa_kernel _ZN2at6native12_GLOBAL__N_124compute_grad_weight_bagsIN3c104HalfEiEEvPKT0_PKT_S7_S7_lliS7_SA_lS7_PKlPNS_14AccumulateTypeIS8_Lb1EE4typeEl
		.amdhsa_group_segment_fixed_size 0
		.amdhsa_private_segment_fixed_size 0
		.amdhsa_kernarg_size 368
		.amdhsa_user_sgpr_count 2
		.amdhsa_user_sgpr_dispatch_ptr 0
		.amdhsa_user_sgpr_queue_ptr 0
		.amdhsa_user_sgpr_kernarg_segment_ptr 1
		.amdhsa_user_sgpr_dispatch_id 0
		.amdhsa_user_sgpr_kernarg_preload_length 0
		.amdhsa_user_sgpr_kernarg_preload_offset 0
		.amdhsa_user_sgpr_private_segment_size 0
		.amdhsa_uses_dynamic_stack 0
		.amdhsa_enable_private_segment 0
		.amdhsa_system_sgpr_workgroup_id_x 1
		.amdhsa_system_sgpr_workgroup_id_y 0
		.amdhsa_system_sgpr_workgroup_id_z 0
		.amdhsa_system_sgpr_workgroup_info 0
		.amdhsa_system_vgpr_workitem_id 0
		.amdhsa_next_free_vgpr 28
		.amdhsa_next_free_sgpr 28
		.amdhsa_accum_offset 28
		.amdhsa_reserve_vcc 1
		.amdhsa_float_round_mode_32 0
		.amdhsa_float_round_mode_16_64 0
		.amdhsa_float_denorm_mode_32 3
		.amdhsa_float_denorm_mode_16_64 3
		.amdhsa_dx10_clamp 1
		.amdhsa_ieee_mode 1
		.amdhsa_fp16_overflow 0
		.amdhsa_tg_split 0
		.amdhsa_exception_fp_ieee_invalid_op 0
		.amdhsa_exception_fp_denorm_src 0
		.amdhsa_exception_fp_ieee_div_zero 0
		.amdhsa_exception_fp_ieee_overflow 0
		.amdhsa_exception_fp_ieee_underflow 0
		.amdhsa_exception_fp_ieee_inexact 0
		.amdhsa_exception_int_div_zero 0
	.end_amdhsa_kernel
	.section	.text._ZN2at6native12_GLOBAL__N_124compute_grad_weight_bagsIN3c104HalfEiEEvPKT0_PKT_S7_S7_lliS7_SA_lS7_PKlPNS_14AccumulateTypeIS8_Lb1EE4typeEl,"axG",@progbits,_ZN2at6native12_GLOBAL__N_124compute_grad_weight_bagsIN3c104HalfEiEEvPKT0_PKT_S7_S7_lliS7_SA_lS7_PKlPNS_14AccumulateTypeIS8_Lb1EE4typeEl,comdat
.Lfunc_end89:
	.size	_ZN2at6native12_GLOBAL__N_124compute_grad_weight_bagsIN3c104HalfEiEEvPKT0_PKT_S7_S7_lliS7_SA_lS7_PKlPNS_14AccumulateTypeIS8_Lb1EE4typeEl, .Lfunc_end89-_ZN2at6native12_GLOBAL__N_124compute_grad_weight_bagsIN3c104HalfEiEEvPKT0_PKT_S7_S7_lliS7_SA_lS7_PKlPNS_14AccumulateTypeIS8_Lb1EE4typeEl
                                        ; -- End function
	.section	.AMDGPU.csdata,"",@progbits
; Kernel info:
; codeLenInByte = 1768
; NumSgprs: 34
; NumVgprs: 28
; NumAgprs: 0
; TotalNumVgprs: 28
; ScratchSize: 0
; MemoryBound: 0
; FloatMode: 240
; IeeeMode: 1
; LDSByteSize: 0 bytes/workgroup (compile time only)
; SGPRBlocks: 4
; VGPRBlocks: 3
; NumSGPRsForWavesPerEU: 34
; NumVGPRsForWavesPerEU: 28
; AccumOffset: 28
; Occupancy: 8
; WaveLimiterHint : 1
; COMPUTE_PGM_RSRC2:SCRATCH_EN: 0
; COMPUTE_PGM_RSRC2:USER_SGPR: 2
; COMPUTE_PGM_RSRC2:TRAP_HANDLER: 0
; COMPUTE_PGM_RSRC2:TGID_X_EN: 1
; COMPUTE_PGM_RSRC2:TGID_Y_EN: 0
; COMPUTE_PGM_RSRC2:TGID_Z_EN: 0
; COMPUTE_PGM_RSRC2:TIDIG_COMP_CNT: 0
; COMPUTE_PGM_RSRC3_GFX90A:ACCUM_OFFSET: 6
; COMPUTE_PGM_RSRC3_GFX90A:TG_SPLIT: 0
	.section	.text._ZN2at6native12_GLOBAL__N_119compute_grad_weightIN3c104HalfEiEEvPKT0_PKT_S7_llS7_PKlPNS_14AccumulateTypeIS8_Lb1EE4typeEl,"axG",@progbits,_ZN2at6native12_GLOBAL__N_119compute_grad_weightIN3c104HalfEiEEvPKT0_PKT_S7_llS7_PKlPNS_14AccumulateTypeIS8_Lb1EE4typeEl,comdat
	.globl	_ZN2at6native12_GLOBAL__N_119compute_grad_weightIN3c104HalfEiEEvPKT0_PKT_S7_llS7_PKlPNS_14AccumulateTypeIS8_Lb1EE4typeEl ; -- Begin function _ZN2at6native12_GLOBAL__N_119compute_grad_weightIN3c104HalfEiEEvPKT0_PKT_S7_llS7_PKlPNS_14AccumulateTypeIS8_Lb1EE4typeEl
	.p2align	8
	.type	_ZN2at6native12_GLOBAL__N_119compute_grad_weightIN3c104HalfEiEEvPKT0_PKT_S7_llS7_PKlPNS_14AccumulateTypeIS8_Lb1EE4typeEl,@function
_ZN2at6native12_GLOBAL__N_119compute_grad_weightIN3c104HalfEiEEvPKT0_PKT_S7_llS7_PKlPNS_14AccumulateTypeIS8_Lb1EE4typeEl: ; @_ZN2at6native12_GLOBAL__N_119compute_grad_weightIN3c104HalfEiEEvPKT0_PKT_S7_llS7_PKlPNS_14AccumulateTypeIS8_Lb1EE4typeEl
; %bb.0:
	s_load_dword s3, s[0:1], 0x54
	s_load_dwordx2 s[20:21], s[0:1], 0x40
	s_load_dwordx16 s[4:19], s[0:1], 0x0
	v_mov_b32_e32 v1, 0
	v_mov_b32_e32 v2, s2
	s_waitcnt lgkmcnt(0)
	s_and_b32 s0, s3, 0xffff
	v_mad_u64_u32 v[2:3], s[0:1], s0, v2, v[0:1]
	v_or_b32_e32 v5, s21, v3
	v_mov_b32_e32 v4, v1
	v_cmp_ne_u64_e32 vcc, 0, v[4:5]
                                        ; implicit-def: $vgpr4_vgpr5
	s_and_saveexec_b64 s[0:1], vcc
	s_xor_b64 s[2:3], exec, s[0:1]
	s_cbranch_execz .LBB90_2
; %bb.1:
	s_ashr_i32 s22, s21, 31
	s_add_u32 s0, s20, s22
	s_mov_b32 s23, s22
	s_addc_u32 s1, s21, s22
	s_xor_b64 s[24:25], s[0:1], s[22:23]
	v_cvt_f32_u32_e32 v0, s24
	v_cvt_f32_u32_e32 v4, s25
	s_sub_u32 s0, 0, s24
	s_subb_u32 s1, 0, s25
	v_fmamk_f32 v0, v4, 0x4f800000, v0
	v_rcp_f32_e32 v0, v0
	s_nop 0
	v_mul_f32_e32 v0, 0x5f7ffffc, v0
	v_mul_f32_e32 v4, 0x2f800000, v0
	v_trunc_f32_e32 v4, v4
	v_fmamk_f32 v0, v4, 0xcf800000, v0
	v_cvt_u32_f32_e32 v6, v4
	v_cvt_u32_f32_e32 v7, v0
	v_mul_lo_u32 v0, s0, v6
	v_mul_hi_u32 v5, s0, v7
	v_mul_lo_u32 v4, s1, v7
	v_add_u32_e32 v0, v5, v0
	v_mul_lo_u32 v8, s0, v7
	v_add_u32_e32 v9, v0, v4
	v_mul_hi_u32 v5, v7, v9
	v_mul_lo_u32 v4, v7, v9
	v_mul_hi_u32 v0, v7, v8
	v_lshl_add_u64 v[4:5], v[0:1], 0, v[4:5]
	v_mul_hi_u32 v0, v6, v8
	v_mul_lo_u32 v8, v6, v8
	v_add_co_u32_e32 v4, vcc, v4, v8
	v_mul_hi_u32 v10, v6, v9
	s_nop 0
	v_addc_co_u32_e32 v0, vcc, v5, v0, vcc
	v_mul_lo_u32 v4, v6, v9
	s_nop 0
	v_addc_co_u32_e32 v5, vcc, 0, v10, vcc
	v_lshl_add_u64 v[4:5], v[0:1], 0, v[4:5]
	v_add_co_u32_e32 v7, vcc, v7, v4
	v_mul_hi_u32 v4, s0, v7
	s_nop 0
	v_addc_co_u32_e32 v6, vcc, v6, v5, vcc
	v_mul_lo_u32 v0, s0, v6
	v_add_u32_e32 v0, v4, v0
	v_mul_lo_u32 v4, s1, v7
	v_add_u32_e32 v8, v0, v4
	v_mul_lo_u32 v0, s0, v7
	v_mul_hi_u32 v10, v6, v0
	v_mul_lo_u32 v11, v6, v0
	v_mul_hi_u32 v5, v7, v8
	;; [unrolled: 2-line block ×3, first 2 shown]
	v_lshl_add_u64 v[4:5], v[0:1], 0, v[4:5]
	v_add_co_u32_e32 v0, vcc, v4, v11
	v_mul_hi_u32 v9, v6, v8
	s_nop 0
	v_addc_co_u32_e32 v0, vcc, v5, v10, vcc
	v_mul_lo_u32 v4, v6, v8
	s_nop 0
	v_addc_co_u32_e32 v5, vcc, 0, v9, vcc
	v_lshl_add_u64 v[4:5], v[0:1], 0, v[4:5]
	v_add_co_u32_e32 v10, vcc, v7, v4
	v_ashrrev_i32_e32 v4, 31, v3
	s_nop 0
	v_addc_co_u32_e32 v8, vcc, v6, v5, vcc
	v_mov_b32_e32 v5, v4
	v_lshl_add_u64 v[6:7], v[2:3], 0, v[4:5]
	v_xor_b32_e32 v12, v6, v4
	v_xor_b32_e32 v5, v7, v4
	v_mad_u64_u32 v[6:7], s[0:1], v12, v8, 0
	v_mul_hi_u32 v0, v12, v10
	v_lshl_add_u64 v[6:7], v[0:1], 0, v[6:7]
	v_mad_u64_u32 v[10:11], s[0:1], v5, v10, 0
	v_add_co_u32_e32 v0, vcc, v6, v10
	v_mad_u64_u32 v[8:9], s[0:1], v5, v8, 0
	s_nop 0
	v_addc_co_u32_e32 v0, vcc, v7, v11, vcc
	s_nop 1
	v_addc_co_u32_e32 v9, vcc, 0, v9, vcc
	v_lshl_add_u64 v[0:1], v[0:1], 0, v[8:9]
	v_mul_lo_u32 v8, s25, v0
	v_mul_lo_u32 v9, s24, v1
	v_mad_u64_u32 v[6:7], s[0:1], s24, v0, 0
	v_add3_u32 v10, v7, v9, v8
	v_sub_u32_e32 v7, v5, v10
	v_mov_b32_e32 v8, s25
	v_sub_co_u32_e32 v11, vcc, v12, v6
	s_nop 1
	v_subb_co_u32_e64 v6, s[0:1], v7, v8, vcc
	v_subrev_co_u32_e64 v7, s[0:1], s24, v11
	v_subb_co_u32_e32 v5, vcc, v5, v10, vcc
	s_nop 0
	v_subbrev_co_u32_e64 v6, s[0:1], 0, v6, s[0:1]
	v_cmp_le_u32_e64 s[0:1], s25, v6
	v_cmp_le_u32_e32 vcc, s25, v5
	s_nop 0
	v_cndmask_b32_e64 v8, 0, -1, s[0:1]
	v_cmp_le_u32_e64 s[0:1], s24, v7
	s_nop 1
	v_cndmask_b32_e64 v7, 0, -1, s[0:1]
	v_cmp_eq_u32_e64 s[0:1], s25, v6
	s_nop 1
	v_cndmask_b32_e64 v12, v8, v7, s[0:1]
	v_lshl_add_u64 v[6:7], v[0:1], 0, 2
	v_lshl_add_u64 v[8:9], v[0:1], 0, 1
	v_cmp_ne_u32_e64 s[0:1], 0, v12
	s_nop 1
	v_cndmask_b32_e64 v7, v9, v7, s[0:1]
	v_cndmask_b32_e64 v9, 0, -1, vcc
	v_cmp_le_u32_e32 vcc, s24, v11
	s_nop 1
	v_cndmask_b32_e64 v10, 0, -1, vcc
	v_cmp_eq_u32_e32 vcc, s25, v5
	s_nop 1
	v_cndmask_b32_e32 v5, v9, v10, vcc
	v_cmp_ne_u32_e32 vcc, 0, v5
	v_cndmask_b32_e64 v5, v8, v6, s[0:1]
	s_nop 0
	v_cndmask_b32_e32 v0, v0, v5, vcc
	v_xor_b32_e32 v5, s22, v4
	v_cndmask_b32_e32 v1, v1, v7, vcc
	v_xor_b32_e32 v0, v0, v5
	v_xor_b32_e32 v1, v1, v5
	v_sub_co_u32_e32 v4, vcc, v0, v5
	s_nop 1
	v_subb_co_u32_e32 v5, vcc, v1, v5, vcc
.LBB90_2:
	s_or_saveexec_b64 s[0:1], s[2:3]
	s_load_dwordx2 s[2:3], s[16:17], 0x0
	s_xor_b64 exec, exec, s[0:1]
	s_cbranch_execz .LBB90_4
; %bb.3:
	v_cvt_f32_u32_e32 v0, s20
	s_sub_i32 s11, 0, s20
	v_rcp_iflag_f32_e32 v0, v0
	s_nop 0
	v_mul_f32_e32 v0, 0x4f7ffffe, v0
	v_cvt_u32_f32_e32 v0, v0
	v_mul_lo_u32 v1, s11, v0
	v_mul_hi_u32 v1, v0, v1
	v_add_u32_e32 v0, v0, v1
	v_mul_hi_u32 v0, v2, v0
	v_mul_lo_u32 v1, v0, s20
	v_sub_u32_e32 v1, v2, v1
	v_add_u32_e32 v4, 1, v0
	v_subrev_u32_e32 v5, s20, v1
	v_cmp_le_u32_e32 vcc, s20, v1
	s_nop 1
	v_cndmask_b32_e32 v1, v1, v5, vcc
	v_cndmask_b32_e32 v0, v0, v4, vcc
	v_add_u32_e32 v4, 1, v0
	v_cmp_le_u32_e32 vcc, s20, v1
	v_mov_b32_e32 v5, 0
	s_nop 0
	v_cndmask_b32_e32 v4, v0, v4, vcc
.LBB90_4:
	s_or_b64 exec, exec, s[0:1]
	v_mul_lo_u32 v6, v5, s20
	v_mul_lo_u32 v7, v4, s21
	v_mad_u64_u32 v[0:1], s[0:1], v4, s20, 0
	v_add3_u32 v1, v1, v7, v6
	v_sub_co_u32_e32 v0, vcc, v2, v0
	s_waitcnt lgkmcnt(0)
	v_cmp_gt_i64_e64 s[0:1], s[2:3], v[4:5]
	v_subb_co_u32_e32 v1, vcc, v3, v1, vcc
	v_cmp_gt_i64_e32 vcc, s[12:13], v[0:1]
	s_and_b64 s[0:1], vcc, s[0:1]
	s_and_saveexec_b64 s[16:17], s[0:1]
	s_cbranch_execz .LBB90_17
; %bb.5:
	v_mov_b32_e32 v2, s14
	v_mov_b32_e32 v3, s15
	v_lshl_add_u64 v[6:7], v[4:5], 2, v[2:3]
	global_load_dword v2, v[6:7], off
	s_add_u32 s0, s2, -1
	s_addc_u32 s1, s3, -1
	v_cmp_ne_u64_e32 vcc, s[0:1], v[4:5]
                                        ; implicit-def: $vgpr12
	s_and_saveexec_b64 s[0:1], vcc
	s_xor_b64 s[0:1], exec, s[0:1]
	s_cbranch_execz .LBB90_7
; %bb.6:
	global_load_dword v12, v[6:7], off offset:4
.LBB90_7:
	s_andn2_saveexec_b64 s[0:1], s[0:1]
	s_cbranch_execz .LBB90_9
; %bb.8:
	s_waitcnt vmcnt(0)
	v_mov_b32_e32 v12, s10
.LBB90_9:
	s_or_b64 exec, exec, s[0:1]
	s_waitcnt vmcnt(0)
	v_cmp_lt_i32_e32 vcc, v2, v12
	v_mov_b32_e32 v3, 0
	s_and_saveexec_b64 s[2:3], vcc
	s_cbranch_execz .LBB90_16
; %bb.10:
	s_cmp_lg_u64 s[8:9], 0
	v_ashrrev_i32_e32 v3, 31, v2
	s_cselect_b64 s[0:1], -1, 0
	v_mov_b32_e32 v6, s6
	v_mov_b32_e32 v7, s7
	v_lshlrev_b64 v[10:11], 2, v[2:3]
	v_cndmask_b32_e64 v13, 0, 1, s[0:1]
	v_lshl_add_u64 v[6:7], v[0:1], 1, v[6:7]
	s_mov_b64 s[6:7], 0
	v_lshl_add_u64 v[8:9], s[4:5], 0, v[10:11]
	v_lshl_add_u64 v[10:11], s[8:9], 0, v[10:11]
	v_mov_b32_e32 v3, 0
	v_cmp_ne_u32_e64 s[0:1], 1, v13
	s_branch .LBB90_13
.LBB90_11:                              ;   in Loop: Header=BB90_13 Depth=1
	global_load_dword v14, v[10:11], off
	s_waitcnt vmcnt(0)
	v_cvt_f32_i32_e32 v14, v14
	v_div_scale_f32 v15, s[4:5], v14, v14, 1.0
	v_rcp_f32_e32 v16, v15
	v_div_scale_f32 v17, vcc, 1.0, v14, 1.0
	v_fma_f32 v18, -v15, v16, 1.0
	v_fmac_f32_e32 v16, v18, v16
	v_mul_f32_e32 v18, v17, v16
	v_fma_f32 v19, -v15, v18, v17
	v_fmac_f32_e32 v18, v19, v16
	v_fma_f32 v15, -v15, v18, v17
	v_div_fmas_f32 v15, v15, v16, v18
	v_div_fixup_f32 v14, v15, v14, 1.0
.LBB90_12:                              ;   in Loop: Header=BB90_13 Depth=1
	s_waitcnt vmcnt(0)
	v_ashrrev_i32_e32 v15, 31, v13
	v_mul_lo_u32 v18, v13, s13
	v_mul_lo_u32 v15, v15, s12
	v_mad_u64_u32 v[16:17], s[4:5], v13, s12, 0
	v_add3_u32 v17, v17, v18, v15
	v_lshl_add_u64 v[16:17], v[16:17], 1, v[6:7]
	global_load_ushort v13, v[16:17], off
	v_add_u32_e32 v2, 1, v2
	v_cmp_ge_i32_e32 vcc, v2, v12
	v_lshl_add_u64 v[8:9], v[8:9], 0, 4
	s_or_b64 s[6:7], vcc, s[6:7]
	v_lshl_add_u64 v[10:11], v[10:11], 0, 4
	s_waitcnt vmcnt(0)
	v_fma_mix_f32 v3, v14, v13, v3 op_sel_hi:[0,1,0]
	s_andn2_b64 exec, exec, s[6:7]
	s_cbranch_execz .LBB90_15
.LBB90_13:                              ; =>This Inner Loop Header: Depth=1
	global_load_dword v13, v[8:9], off
	s_and_b64 vcc, exec, s[0:1]
	s_cbranch_vccz .LBB90_11
; %bb.14:                               ;   in Loop: Header=BB90_13 Depth=1
	v_mov_b32_e32 v14, 1.0
	s_branch .LBB90_12
.LBB90_15:
	s_or_b64 exec, exec, s[6:7]
.LBB90_16:
	s_or_b64 exec, exec, s[2:3]
	v_mul_lo_u32 v2, v5, s12
	v_mul_lo_u32 v8, v4, s13
	v_mad_u64_u32 v[4:5], s[0:1], v4, s12, 0
	v_mov_b32_e32 v6, s18
	v_mov_b32_e32 v7, s19
	v_add3_u32 v5, v5, v8, v2
	v_lshl_add_u64 v[4:5], v[4:5], 2, v[6:7]
	v_lshl_add_u64 v[0:1], v[0:1], 2, v[4:5]
	global_store_dword v[0:1], v3, off
.LBB90_17:
	s_endpgm
	.section	.rodata,"a",@progbits
	.p2align	6, 0x0
	.amdhsa_kernel _ZN2at6native12_GLOBAL__N_119compute_grad_weightIN3c104HalfEiEEvPKT0_PKT_S7_llS7_PKlPNS_14AccumulateTypeIS8_Lb1EE4typeEl
		.amdhsa_group_segment_fixed_size 0
		.amdhsa_private_segment_fixed_size 0
		.amdhsa_kernarg_size 328
		.amdhsa_user_sgpr_count 2
		.amdhsa_user_sgpr_dispatch_ptr 0
		.amdhsa_user_sgpr_queue_ptr 0
		.amdhsa_user_sgpr_kernarg_segment_ptr 1
		.amdhsa_user_sgpr_dispatch_id 0
		.amdhsa_user_sgpr_kernarg_preload_length 0
		.amdhsa_user_sgpr_kernarg_preload_offset 0
		.amdhsa_user_sgpr_private_segment_size 0
		.amdhsa_uses_dynamic_stack 0
		.amdhsa_enable_private_segment 0
		.amdhsa_system_sgpr_workgroup_id_x 1
		.amdhsa_system_sgpr_workgroup_id_y 0
		.amdhsa_system_sgpr_workgroup_id_z 0
		.amdhsa_system_sgpr_workgroup_info 0
		.amdhsa_system_vgpr_workitem_id 0
		.amdhsa_next_free_vgpr 20
		.amdhsa_next_free_sgpr 26
		.amdhsa_accum_offset 20
		.amdhsa_reserve_vcc 1
		.amdhsa_float_round_mode_32 0
		.amdhsa_float_round_mode_16_64 0
		.amdhsa_float_denorm_mode_32 3
		.amdhsa_float_denorm_mode_16_64 3
		.amdhsa_dx10_clamp 1
		.amdhsa_ieee_mode 1
		.amdhsa_fp16_overflow 0
		.amdhsa_tg_split 0
		.amdhsa_exception_fp_ieee_invalid_op 0
		.amdhsa_exception_fp_denorm_src 0
		.amdhsa_exception_fp_ieee_div_zero 0
		.amdhsa_exception_fp_ieee_overflow 0
		.amdhsa_exception_fp_ieee_underflow 0
		.amdhsa_exception_fp_ieee_inexact 0
		.amdhsa_exception_int_div_zero 0
	.end_amdhsa_kernel
	.section	.text._ZN2at6native12_GLOBAL__N_119compute_grad_weightIN3c104HalfEiEEvPKT0_PKT_S7_llS7_PKlPNS_14AccumulateTypeIS8_Lb1EE4typeEl,"axG",@progbits,_ZN2at6native12_GLOBAL__N_119compute_grad_weightIN3c104HalfEiEEvPKT0_PKT_S7_llS7_PKlPNS_14AccumulateTypeIS8_Lb1EE4typeEl,comdat
.Lfunc_end90:
	.size	_ZN2at6native12_GLOBAL__N_119compute_grad_weightIN3c104HalfEiEEvPKT0_PKT_S7_llS7_PKlPNS_14AccumulateTypeIS8_Lb1EE4typeEl, .Lfunc_end90-_ZN2at6native12_GLOBAL__N_119compute_grad_weightIN3c104HalfEiEEvPKT0_PKT_S7_llS7_PKlPNS_14AccumulateTypeIS8_Lb1EE4typeEl
                                        ; -- End function
	.section	.AMDGPU.csdata,"",@progbits
; Kernel info:
; codeLenInByte = 1480
; NumSgprs: 32
; NumVgprs: 20
; NumAgprs: 0
; TotalNumVgprs: 20
; ScratchSize: 0
; MemoryBound: 0
; FloatMode: 240
; IeeeMode: 1
; LDSByteSize: 0 bytes/workgroup (compile time only)
; SGPRBlocks: 3
; VGPRBlocks: 2
; NumSGPRsForWavesPerEU: 32
; NumVGPRsForWavesPerEU: 20
; AccumOffset: 20
; Occupancy: 8
; WaveLimiterHint : 1
; COMPUTE_PGM_RSRC2:SCRATCH_EN: 0
; COMPUTE_PGM_RSRC2:USER_SGPR: 2
; COMPUTE_PGM_RSRC2:TRAP_HANDLER: 0
; COMPUTE_PGM_RSRC2:TGID_X_EN: 1
; COMPUTE_PGM_RSRC2:TGID_Y_EN: 0
; COMPUTE_PGM_RSRC2:TGID_Z_EN: 0
; COMPUTE_PGM_RSRC2:TIDIG_COMP_CNT: 0
; COMPUTE_PGM_RSRC3_GFX90A:ACCUM_OFFSET: 4
; COMPUTE_PGM_RSRC3_GFX90A:TG_SPLIT: 0
	.section	.text._ZN2at6native12_GLOBAL__N_115sum_and_scatterIN3c104HalfEiEEvPKT0_PT_lS7_PKlPKNS_14AccumulateTypeIS8_Lb1EE4typeES7_SB_ll,"axG",@progbits,_ZN2at6native12_GLOBAL__N_115sum_and_scatterIN3c104HalfEiEEvPKT0_PT_lS7_PKlPKNS_14AccumulateTypeIS8_Lb1EE4typeES7_SB_ll,comdat
	.globl	_ZN2at6native12_GLOBAL__N_115sum_and_scatterIN3c104HalfEiEEvPKT0_PT_lS7_PKlPKNS_14AccumulateTypeIS8_Lb1EE4typeES7_SB_ll ; -- Begin function _ZN2at6native12_GLOBAL__N_115sum_and_scatterIN3c104HalfEiEEvPKT0_PT_lS7_PKlPKNS_14AccumulateTypeIS8_Lb1EE4typeES7_SB_ll
	.p2align	8
	.type	_ZN2at6native12_GLOBAL__N_115sum_and_scatterIN3c104HalfEiEEvPKT0_PT_lS7_PKlPKNS_14AccumulateTypeIS8_Lb1EE4typeES7_SB_ll,@function
_ZN2at6native12_GLOBAL__N_115sum_and_scatterIN3c104HalfEiEEvPKT0_PT_lS7_PKlPKNS_14AccumulateTypeIS8_Lb1EE4typeES7_SB_ll: ; @_ZN2at6native12_GLOBAL__N_115sum_and_scatterIN3c104HalfEiEEvPKT0_PT_lS7_PKlPKNS_14AccumulateTypeIS8_Lb1EE4typeES7_SB_ll
; %bb.0:
	s_load_dword s3, s[0:1], 0x5c
	s_load_dwordx4 s[20:23], s[0:1], 0x40
	s_load_dwordx16 s[4:19], s[0:1], 0x0
	v_mov_b32_e32 v1, 0
	v_mov_b32_e32 v2, s2
	s_waitcnt lgkmcnt(0)
	s_and_b32 s0, s3, 0xffff
	v_mad_u64_u32 v[2:3], s[0:1], s0, v2, v[0:1]
	v_or_b32_e32 v5, s23, v3
	v_mov_b32_e32 v4, v1
	v_cmp_ne_u64_e32 vcc, 0, v[4:5]
                                        ; implicit-def: $vgpr4_vgpr5
	s_and_saveexec_b64 s[0:1], vcc
	s_xor_b64 s[2:3], exec, s[0:1]
	s_cbranch_execz .LBB91_2
; %bb.1:
	s_ashr_i32 s24, s23, 31
	s_add_u32 s0, s22, s24
	s_mov_b32 s25, s24
	s_addc_u32 s1, s23, s24
	s_xor_b64 s[26:27], s[0:1], s[24:25]
	v_cvt_f32_u32_e32 v0, s26
	v_cvt_f32_u32_e32 v4, s27
	s_sub_u32 s0, 0, s26
	s_subb_u32 s1, 0, s27
	v_fmamk_f32 v0, v4, 0x4f800000, v0
	v_rcp_f32_e32 v0, v0
	s_nop 0
	v_mul_f32_e32 v0, 0x5f7ffffc, v0
	v_mul_f32_e32 v4, 0x2f800000, v0
	v_trunc_f32_e32 v4, v4
	v_fmamk_f32 v0, v4, 0xcf800000, v0
	v_cvt_u32_f32_e32 v6, v4
	v_cvt_u32_f32_e32 v7, v0
	v_mul_lo_u32 v0, s0, v6
	v_mul_hi_u32 v5, s0, v7
	v_mul_lo_u32 v4, s1, v7
	v_add_u32_e32 v0, v5, v0
	v_mul_lo_u32 v8, s0, v7
	v_add_u32_e32 v9, v0, v4
	v_mul_hi_u32 v5, v7, v9
	v_mul_lo_u32 v4, v7, v9
	v_mul_hi_u32 v0, v7, v8
	v_lshl_add_u64 v[4:5], v[0:1], 0, v[4:5]
	v_mul_hi_u32 v0, v6, v8
	v_mul_lo_u32 v8, v6, v8
	v_add_co_u32_e32 v4, vcc, v4, v8
	v_mul_hi_u32 v10, v6, v9
	s_nop 0
	v_addc_co_u32_e32 v0, vcc, v5, v0, vcc
	v_mul_lo_u32 v4, v6, v9
	s_nop 0
	v_addc_co_u32_e32 v5, vcc, 0, v10, vcc
	v_lshl_add_u64 v[4:5], v[0:1], 0, v[4:5]
	v_add_co_u32_e32 v7, vcc, v7, v4
	v_mul_hi_u32 v4, s0, v7
	s_nop 0
	v_addc_co_u32_e32 v6, vcc, v6, v5, vcc
	v_mul_lo_u32 v0, s0, v6
	v_add_u32_e32 v0, v4, v0
	v_mul_lo_u32 v4, s1, v7
	v_add_u32_e32 v8, v0, v4
	v_mul_lo_u32 v0, s0, v7
	v_mul_hi_u32 v10, v6, v0
	v_mul_lo_u32 v11, v6, v0
	v_mul_hi_u32 v5, v7, v8
	;; [unrolled: 2-line block ×3, first 2 shown]
	v_lshl_add_u64 v[4:5], v[0:1], 0, v[4:5]
	v_add_co_u32_e32 v0, vcc, v4, v11
	v_mul_hi_u32 v9, v6, v8
	s_nop 0
	v_addc_co_u32_e32 v0, vcc, v5, v10, vcc
	v_mul_lo_u32 v4, v6, v8
	s_nop 0
	v_addc_co_u32_e32 v5, vcc, 0, v9, vcc
	v_lshl_add_u64 v[4:5], v[0:1], 0, v[4:5]
	v_add_co_u32_e32 v10, vcc, v7, v4
	v_ashrrev_i32_e32 v4, 31, v3
	s_nop 0
	v_addc_co_u32_e32 v8, vcc, v6, v5, vcc
	v_mov_b32_e32 v5, v4
	v_lshl_add_u64 v[6:7], v[2:3], 0, v[4:5]
	v_xor_b32_e32 v12, v6, v4
	v_xor_b32_e32 v5, v7, v4
	v_mad_u64_u32 v[6:7], s[0:1], v12, v8, 0
	v_mul_hi_u32 v0, v12, v10
	v_lshl_add_u64 v[6:7], v[0:1], 0, v[6:7]
	v_mad_u64_u32 v[10:11], s[0:1], v5, v10, 0
	v_add_co_u32_e32 v0, vcc, v6, v10
	v_mad_u64_u32 v[8:9], s[0:1], v5, v8, 0
	s_nop 0
	v_addc_co_u32_e32 v0, vcc, v7, v11, vcc
	s_nop 1
	v_addc_co_u32_e32 v9, vcc, 0, v9, vcc
	v_lshl_add_u64 v[0:1], v[0:1], 0, v[8:9]
	v_mul_lo_u32 v8, s27, v0
	v_mul_lo_u32 v9, s26, v1
	v_mad_u64_u32 v[6:7], s[0:1], s26, v0, 0
	v_add3_u32 v10, v7, v9, v8
	v_sub_u32_e32 v7, v5, v10
	v_mov_b32_e32 v8, s27
	v_sub_co_u32_e32 v11, vcc, v12, v6
	s_nop 1
	v_subb_co_u32_e64 v6, s[0:1], v7, v8, vcc
	v_subrev_co_u32_e64 v7, s[0:1], s26, v11
	v_subb_co_u32_e32 v5, vcc, v5, v10, vcc
	s_nop 0
	v_subbrev_co_u32_e64 v6, s[0:1], 0, v6, s[0:1]
	v_cmp_le_u32_e64 s[0:1], s27, v6
	v_cmp_le_u32_e32 vcc, s27, v5
	s_nop 0
	v_cndmask_b32_e64 v8, 0, -1, s[0:1]
	v_cmp_le_u32_e64 s[0:1], s26, v7
	s_nop 1
	v_cndmask_b32_e64 v7, 0, -1, s[0:1]
	v_cmp_eq_u32_e64 s[0:1], s27, v6
	s_nop 1
	v_cndmask_b32_e64 v12, v8, v7, s[0:1]
	v_lshl_add_u64 v[6:7], v[0:1], 0, 2
	v_lshl_add_u64 v[8:9], v[0:1], 0, 1
	v_cmp_ne_u32_e64 s[0:1], 0, v12
	s_nop 1
	v_cndmask_b32_e64 v7, v9, v7, s[0:1]
	v_cndmask_b32_e64 v9, 0, -1, vcc
	v_cmp_le_u32_e32 vcc, s26, v11
	s_nop 1
	v_cndmask_b32_e64 v10, 0, -1, vcc
	v_cmp_eq_u32_e32 vcc, s27, v5
	s_nop 1
	v_cndmask_b32_e32 v5, v9, v10, vcc
	v_cmp_ne_u32_e32 vcc, 0, v5
	v_cndmask_b32_e64 v5, v8, v6, s[0:1]
	s_nop 0
	v_cndmask_b32_e32 v0, v0, v5, vcc
	v_xor_b32_e32 v5, s24, v4
	v_cndmask_b32_e32 v1, v1, v7, vcc
	v_xor_b32_e32 v0, v0, v5
	v_xor_b32_e32 v1, v1, v5
	v_sub_co_u32_e32 v4, vcc, v0, v5
	s_nop 1
	v_subb_co_u32_e32 v5, vcc, v1, v5, vcc
.LBB91_2:
	s_or_saveexec_b64 s[0:1], s[2:3]
	s_load_dwordx2 s[2:3], s[12:13], 0x0
	s_xor_b64 exec, exec, s[0:1]
	s_cbranch_execz .LBB91_4
; %bb.3:
	v_cvt_f32_u32_e32 v0, s22
	s_sub_i32 s12, 0, s22
	v_rcp_iflag_f32_e32 v0, v0
	s_nop 0
	v_mul_f32_e32 v0, 0x4f7ffffe, v0
	v_cvt_u32_f32_e32 v0, v0
	v_mul_lo_u32 v1, s12, v0
	v_mul_hi_u32 v1, v0, v1
	v_add_u32_e32 v0, v0, v1
	v_mul_hi_u32 v0, v2, v0
	v_mul_lo_u32 v1, v0, s22
	v_sub_u32_e32 v1, v2, v1
	v_add_u32_e32 v4, 1, v0
	v_subrev_u32_e32 v5, s22, v1
	v_cmp_le_u32_e32 vcc, s22, v1
	s_nop 1
	v_cndmask_b32_e32 v1, v1, v5, vcc
	v_cndmask_b32_e32 v0, v0, v4, vcc
	v_add_u32_e32 v4, 1, v0
	v_cmp_le_u32_e32 vcc, s22, v1
	v_mov_b32_e32 v5, 0
	s_nop 0
	v_cndmask_b32_e32 v4, v0, v4, vcc
.LBB91_4:
	s_or_b64 exec, exec, s[0:1]
	v_mul_lo_u32 v0, v5, s22
	v_mul_lo_u32 v1, v4, s23
	v_mad_u64_u32 v[6:7], s[0:1], v4, s22, 0
	v_add3_u32 v7, v7, v1, v0
	v_sub_co_u32_e32 v0, vcc, v2, v6
	s_waitcnt lgkmcnt(0)
	v_cmp_gt_i64_e64 s[0:1], s[2:3], v[4:5]
	v_subb_co_u32_e32 v1, vcc, v3, v7, vcc
	v_cmp_gt_i64_e32 vcc, s[8:9], v[0:1]
	s_and_b64 s[0:1], vcc, s[0:1]
	s_and_saveexec_b64 s[12:13], s[0:1]
	s_cbranch_execz .LBB91_15
; %bb.5:
	v_mov_b32_e32 v8, s16
	v_mov_b32_e32 v9, s17
	v_lshl_add_u64 v[8:9], v[4:5], 2, v[8:9]
	global_load_dword v10, v[8:9], off
	s_add_u32 s0, s2, -1
	s_addc_u32 s1, s3, -1
	v_cmp_ne_u64_e32 vcc, s[0:1], v[4:5]
                                        ; implicit-def: $vgpr11
	s_and_saveexec_b64 s[0:1], vcc
	s_xor_b64 s[0:1], exec, s[0:1]
	s_cbranch_execz .LBB91_7
; %bb.6:
	global_load_dword v11, v[8:9], off offset:4
.LBB91_7:
	s_andn2_saveexec_b64 s[0:1], s[0:1]
	s_cbranch_execz .LBB91_9
; %bb.8:
	s_load_dwordx2 s[2:3], s[18:19], 0x0
	s_waitcnt vmcnt(0) lgkmcnt(0)
	v_mov_b32_e32 v11, s2
.LBB91_9:
	s_or_b64 exec, exec, s[0:1]
	s_waitcnt vmcnt(0)
	v_cmp_lt_i32_e32 vcc, v10, v11
	v_mov_b32_e32 v8, 0
	s_and_saveexec_b64 s[0:1], vcc
	s_cbranch_execz .LBB91_13
; %bb.10:
	v_ashrrev_i32_e32 v8, 31, v10
	v_mul_lo_u32 v12, s9, v10
	v_mul_lo_u32 v13, s8, v8
	v_mad_u64_u32 v[8:9], s[2:3], s8, v10, 0
	v_add3_u32 v9, v9, v13, v12
	v_lshlrev_b64 v[2:3], 2, v[2:3]
	v_lshl_add_u64 v[2:3], v[8:9], 2, v[2:3]
	v_lshlrev_b64 v[6:7], 2, v[6:7]
	v_sub_co_u32_e32 v2, vcc, v2, v6
	s_lshl_b64 s[12:13], s[8:9], 2
	s_nop 0
	v_subb_co_u32_e32 v3, vcc, v3, v7, vcc
	v_lshl_add_u64 v[2:3], s[14:15], 0, v[2:3]
	s_mov_b64 s[2:3], 0
	v_mov_b32_e32 v6, 0
.LBB91_11:                              ; =>This Inner Loop Header: Depth=1
	global_load_dword v7, v[2:3], off
	v_add_u32_e32 v10, 1, v10
	v_cmp_ge_i32_e32 vcc, v10, v11
	v_lshl_add_u64 v[2:3], v[2:3], 0, s[12:13]
	s_or_b64 s[2:3], vcc, s[2:3]
	s_waitcnt vmcnt(0)
	v_add_f32_e32 v6, v6, v7
	s_andn2_b64 exec, exec, s[2:3]
	s_cbranch_execnz .LBB91_11
; %bb.12:
	s_or_b64 exec, exec, s[2:3]
	v_cvt_f16_f32_e32 v8, v6
.LBB91_13:
	s_or_b64 exec, exec, s[0:1]
	v_mov_b32_e32 v2, s10
	v_mov_b32_e32 v3, s11
	v_lshl_add_u64 v[2:3], v[4:5], 2, v[2:3]
	global_load_dword v2, v[2:3], off
	v_mov_b32_e32 v4, s4
	v_mov_b32_e32 v5, s5
	s_waitcnt vmcnt(0)
	v_ashrrev_i32_e32 v3, 31, v2
	v_lshl_add_u64 v[2:3], v[2:3], 2, v[4:5]
	global_load_dword v2, v[2:3], off
	s_waitcnt vmcnt(0)
	v_ashrrev_i32_e32 v3, 31, v2
	v_cmp_ne_u64_e32 vcc, s[20:21], v[2:3]
	s_and_b64 exec, exec, vcc
	s_cbranch_execz .LBB91_15
; %bb.14:
	v_mul_lo_u32 v6, v3, s8
	v_mul_lo_u32 v7, v2, s9
	v_mad_u64_u32 v[2:3], s[0:1], v2, s8, 0
	v_mov_b32_e32 v4, s6
	v_mov_b32_e32 v5, s7
	v_add3_u32 v3, v3, v7, v6
	v_lshl_add_u64 v[2:3], v[2:3], 1, v[4:5]
	v_lshl_add_u64 v[0:1], v[0:1], 1, v[2:3]
	global_store_short v[0:1], v8, off
.LBB91_15:
	s_endpgm
	.section	.rodata,"a",@progbits
	.p2align	6, 0x0
	.amdhsa_kernel _ZN2at6native12_GLOBAL__N_115sum_and_scatterIN3c104HalfEiEEvPKT0_PT_lS7_PKlPKNS_14AccumulateTypeIS8_Lb1EE4typeES7_SB_ll
		.amdhsa_group_segment_fixed_size 0
		.amdhsa_private_segment_fixed_size 0
		.amdhsa_kernarg_size 336
		.amdhsa_user_sgpr_count 2
		.amdhsa_user_sgpr_dispatch_ptr 0
		.amdhsa_user_sgpr_queue_ptr 0
		.amdhsa_user_sgpr_kernarg_segment_ptr 1
		.amdhsa_user_sgpr_dispatch_id 0
		.amdhsa_user_sgpr_kernarg_preload_length 0
		.amdhsa_user_sgpr_kernarg_preload_offset 0
		.amdhsa_user_sgpr_private_segment_size 0
		.amdhsa_uses_dynamic_stack 0
		.amdhsa_enable_private_segment 0
		.amdhsa_system_sgpr_workgroup_id_x 1
		.amdhsa_system_sgpr_workgroup_id_y 0
		.amdhsa_system_sgpr_workgroup_id_z 0
		.amdhsa_system_sgpr_workgroup_info 0
		.amdhsa_system_vgpr_workitem_id 0
		.amdhsa_next_free_vgpr 14
		.amdhsa_next_free_sgpr 28
		.amdhsa_accum_offset 16
		.amdhsa_reserve_vcc 1
		.amdhsa_float_round_mode_32 0
		.amdhsa_float_round_mode_16_64 0
		.amdhsa_float_denorm_mode_32 3
		.amdhsa_float_denorm_mode_16_64 3
		.amdhsa_dx10_clamp 1
		.amdhsa_ieee_mode 1
		.amdhsa_fp16_overflow 0
		.amdhsa_tg_split 0
		.amdhsa_exception_fp_ieee_invalid_op 0
		.amdhsa_exception_fp_denorm_src 0
		.amdhsa_exception_fp_ieee_div_zero 0
		.amdhsa_exception_fp_ieee_overflow 0
		.amdhsa_exception_fp_ieee_underflow 0
		.amdhsa_exception_fp_ieee_inexact 0
		.amdhsa_exception_int_div_zero 0
	.end_amdhsa_kernel
	.section	.text._ZN2at6native12_GLOBAL__N_115sum_and_scatterIN3c104HalfEiEEvPKT0_PT_lS7_PKlPKNS_14AccumulateTypeIS8_Lb1EE4typeES7_SB_ll,"axG",@progbits,_ZN2at6native12_GLOBAL__N_115sum_and_scatterIN3c104HalfEiEEvPKT0_PT_lS7_PKlPKNS_14AccumulateTypeIS8_Lb1EE4typeES7_SB_ll,comdat
.Lfunc_end91:
	.size	_ZN2at6native12_GLOBAL__N_115sum_and_scatterIN3c104HalfEiEEvPKT0_PT_lS7_PKlPKNS_14AccumulateTypeIS8_Lb1EE4typeES7_SB_ll, .Lfunc_end91-_ZN2at6native12_GLOBAL__N_115sum_and_scatterIN3c104HalfEiEEvPKT0_PT_lS7_PKlPKNS_14AccumulateTypeIS8_Lb1EE4typeES7_SB_ll
                                        ; -- End function
	.section	.AMDGPU.csdata,"",@progbits
; Kernel info:
; codeLenInByte = 1408
; NumSgprs: 34
; NumVgprs: 14
; NumAgprs: 0
; TotalNumVgprs: 14
; ScratchSize: 0
; MemoryBound: 0
; FloatMode: 240
; IeeeMode: 1
; LDSByteSize: 0 bytes/workgroup (compile time only)
; SGPRBlocks: 4
; VGPRBlocks: 1
; NumSGPRsForWavesPerEU: 34
; NumVGPRsForWavesPerEU: 14
; AccumOffset: 16
; Occupancy: 8
; WaveLimiterHint : 1
; COMPUTE_PGM_RSRC2:SCRATCH_EN: 0
; COMPUTE_PGM_RSRC2:USER_SGPR: 2
; COMPUTE_PGM_RSRC2:TRAP_HANDLER: 0
; COMPUTE_PGM_RSRC2:TGID_X_EN: 1
; COMPUTE_PGM_RSRC2:TGID_Y_EN: 0
; COMPUTE_PGM_RSRC2:TGID_Z_EN: 0
; COMPUTE_PGM_RSRC2:TIDIG_COMP_CNT: 0
; COMPUTE_PGM_RSRC3_GFX90A:ACCUM_OFFSET: 3
; COMPUTE_PGM_RSRC3_GFX90A:TG_SPLIT: 0
	.section	.text._ZN2at6native12_GLOBAL__N_137compute_grad_weight_atomic_accumulateIN3c108BFloat16EfiEEvPKT1_PKT_S7_llS7_PKlS7_S7_S7_PT0_ll,"axG",@progbits,_ZN2at6native12_GLOBAL__N_137compute_grad_weight_atomic_accumulateIN3c108BFloat16EfiEEvPKT1_PKT_S7_llS7_PKlS7_S7_S7_PT0_ll,comdat
	.globl	_ZN2at6native12_GLOBAL__N_137compute_grad_weight_atomic_accumulateIN3c108BFloat16EfiEEvPKT1_PKT_S7_llS7_PKlS7_S7_S7_PT0_ll ; -- Begin function _ZN2at6native12_GLOBAL__N_137compute_grad_weight_atomic_accumulateIN3c108BFloat16EfiEEvPKT1_PKT_S7_llS7_PKlS7_S7_S7_PT0_ll
	.p2align	8
	.type	_ZN2at6native12_GLOBAL__N_137compute_grad_weight_atomic_accumulateIN3c108BFloat16EfiEEvPKT1_PKT_S7_llS7_PKlS7_S7_S7_PT0_ll,@function
_ZN2at6native12_GLOBAL__N_137compute_grad_weight_atomic_accumulateIN3c108BFloat16EfiEEvPKT1_PKT_S7_llS7_PKlS7_S7_S7_PT0_ll: ; @_ZN2at6native12_GLOBAL__N_137compute_grad_weight_atomic_accumulateIN3c108BFloat16EfiEEvPKT1_PKT_S7_llS7_PKlS7_S7_S7_PT0_ll
; %bb.0:
	s_load_dword s3, s[0:1], 0x74
	s_load_dwordx2 s[20:21], s[0:1], 0x60
	v_mov_b32_e32 v4, 0
	s_waitcnt lgkmcnt(0)
	s_and_b32 s3, s3, 0xffff
	s_mul_i32 s2, s2, s3
	v_add_u32_e32 v2, s2, v0
	v_ashrrev_i32_e32 v3, 31, v2
	v_or_b32_e32 v5, s21, v3
	v_cmp_ne_u64_e32 vcc, 0, v[4:5]
                                        ; implicit-def: $vgpr0_vgpr1
	s_and_saveexec_b64 s[2:3], vcc
	s_xor_b64 s[4:5], exec, s[2:3]
	s_cbranch_execz .LBB92_2
; %bb.1:
	s_ashr_i32 s6, s21, 31
	s_add_u32 s2, s20, s6
	s_mov_b32 s7, s6
	s_addc_u32 s3, s21, s6
	s_xor_b64 s[8:9], s[2:3], s[6:7]
	v_cvt_f32_u32_e32 v0, s8
	v_cvt_f32_u32_e32 v1, s9
	s_sub_u32 s2, 0, s8
	s_subb_u32 s3, 0, s9
	v_mov_b32_e32 v7, v4
	v_fmamk_f32 v0, v1, 0x4f800000, v0
	v_rcp_f32_e32 v0, v0
	s_nop 0
	v_mul_f32_e32 v0, 0x5f7ffffc, v0
	v_mul_f32_e32 v1, 0x2f800000, v0
	v_trunc_f32_e32 v1, v1
	v_fmamk_f32 v0, v1, 0xcf800000, v0
	v_cvt_u32_f32_e32 v5, v1
	v_cvt_u32_f32_e32 v8, v0
	v_mul_lo_u32 v0, s2, v5
	v_mul_hi_u32 v6, s2, v8
	v_mul_lo_u32 v1, s3, v8
	v_add_u32_e32 v0, v6, v0
	v_mul_lo_u32 v9, s2, v8
	v_add_u32_e32 v10, v0, v1
	v_mul_hi_u32 v1, v8, v10
	v_mul_lo_u32 v0, v8, v10
	v_mul_hi_u32 v6, v8, v9
	v_lshl_add_u64 v[0:1], v[6:7], 0, v[0:1]
	v_mul_hi_u32 v7, v5, v9
	v_mul_lo_u32 v9, v5, v9
	v_add_co_u32_e32 v0, vcc, v0, v9
	v_mul_hi_u32 v6, v5, v10
	s_nop 0
	v_addc_co_u32_e32 v0, vcc, v1, v7, vcc
	v_mov_b32_e32 v1, v4
	s_nop 0
	v_addc_co_u32_e32 v7, vcc, 0, v6, vcc
	v_mul_lo_u32 v6, v5, v10
	v_lshl_add_u64 v[0:1], v[0:1], 0, v[6:7]
	v_add_co_u32_e32 v8, vcc, v8, v0
	v_mul_lo_u32 v6, s2, v8
	s_nop 0
	v_addc_co_u32_e32 v5, vcc, v5, v1, vcc
	v_mul_lo_u32 v0, s2, v5
	v_mul_hi_u32 v1, s2, v8
	v_add_u32_e32 v0, v1, v0
	v_mul_lo_u32 v1, s3, v8
	v_add_u32_e32 v9, v0, v1
	v_mul_hi_u32 v11, v5, v6
	v_mul_lo_u32 v12, v5, v6
	v_mul_hi_u32 v1, v8, v9
	v_mul_lo_u32 v0, v8, v9
	v_mul_hi_u32 v6, v8, v6
	v_mov_b32_e32 v7, v4
	v_lshl_add_u64 v[0:1], v[6:7], 0, v[0:1]
	v_add_co_u32_e32 v0, vcc, v0, v12
	v_mul_hi_u32 v10, v5, v9
	s_nop 0
	v_addc_co_u32_e32 v0, vcc, v1, v11, vcc
	v_mul_lo_u32 v6, v5, v9
	s_nop 0
	v_addc_co_u32_e32 v7, vcc, 0, v10, vcc
	v_mov_b32_e32 v1, v4
	v_lshl_add_u64 v[0:1], v[0:1], 0, v[6:7]
	v_add_co_u32_e32 v10, vcc, v8, v0
	v_mov_b32_e32 v0, v3
	s_nop 0
	v_addc_co_u32_e32 v5, vcc, v5, v1, vcc
	v_mov_b32_e32 v1, v3
	v_lshl_add_u64 v[6:7], v[2:3], 0, v[0:1]
	v_xor_b32_e32 v13, v6, v0
	v_xor_b32_e32 v12, v7, v1
	v_mad_u64_u32 v[6:7], s[2:3], v13, v5, 0
	v_mul_hi_u32 v8, v13, v10
	v_mov_b32_e32 v9, v4
	v_lshl_add_u64 v[6:7], v[8:9], 0, v[6:7]
	v_mad_u64_u32 v[10:11], s[2:3], v12, v10, 0
	v_mad_u64_u32 v[8:9], s[2:3], v12, v5, 0
	v_add_co_u32_e32 v5, vcc, v6, v10
	v_xor_b32_e32 v0, s6, v0
	s_nop 0
	v_addc_co_u32_e32 v6, vcc, v7, v11, vcc
	v_mov_b32_e32 v7, v4
	s_nop 0
	v_addc_co_u32_e32 v9, vcc, 0, v9, vcc
	v_lshl_add_u64 v[4:5], v[6:7], 0, v[8:9]
	v_mul_lo_u32 v8, s9, v4
	v_mul_lo_u32 v9, s8, v5
	v_mad_u64_u32 v[6:7], s[2:3], s8, v4, 0
	v_add3_u32 v10, v7, v9, v8
	v_sub_u32_e32 v7, v12, v10
	v_mov_b32_e32 v8, s9
	v_sub_co_u32_e32 v11, vcc, v13, v6
	v_xor_b32_e32 v1, s6, v1
	s_nop 0
	v_subb_co_u32_e64 v6, s[2:3], v7, v8, vcc
	v_subrev_co_u32_e64 v7, s[2:3], s8, v11
	s_nop 1
	v_subbrev_co_u32_e64 v6, s[2:3], 0, v6, s[2:3]
	v_cmp_le_u32_e64 s[2:3], s9, v6
	s_nop 1
	v_cndmask_b32_e64 v8, 0, -1, s[2:3]
	v_cmp_le_u32_e64 s[2:3], s8, v7
	s_nop 1
	v_cndmask_b32_e64 v7, 0, -1, s[2:3]
	v_cmp_eq_u32_e64 s[2:3], s9, v6
	s_nop 1
	v_cndmask_b32_e64 v13, v8, v7, s[2:3]
	v_lshl_add_u64 v[6:7], v[4:5], 0, 2
	v_lshl_add_u64 v[8:9], v[4:5], 0, 1
	v_cmp_ne_u32_e64 s[2:3], 0, v13
	s_nop 1
	v_cndmask_b32_e64 v7, v9, v7, s[2:3]
	v_subb_co_u32_e32 v9, vcc, v12, v10, vcc
	v_cmp_le_u32_e32 vcc, s9, v9
	v_cndmask_b32_e64 v6, v8, v6, s[2:3]
	s_nop 0
	v_cndmask_b32_e64 v10, 0, -1, vcc
	v_cmp_le_u32_e32 vcc, s8, v11
	s_nop 1
	v_cndmask_b32_e64 v11, 0, -1, vcc
	v_cmp_eq_u32_e32 vcc, s9, v9
	s_nop 1
	v_cndmask_b32_e32 v9, v10, v11, vcc
	v_cmp_ne_u32_e32 vcc, 0, v9
	s_nop 1
	v_cndmask_b32_e32 v4, v4, v6, vcc
	v_cndmask_b32_e32 v5, v5, v7, vcc
	v_xor_b32_e32 v4, v4, v0
	v_xor_b32_e32 v5, v5, v1
	v_sub_co_u32_e32 v0, vcc, v4, v0
	s_nop 1
	v_subb_co_u32_e32 v1, vcc, v5, v1, vcc
.LBB92_2:
	s_or_saveexec_b64 s[2:3], s[4:5]
	s_load_dwordx16 s[4:19], s[0:1], 0x0
	s_xor_b64 exec, exec, s[2:3]
	s_cbranch_execz .LBB92_4
; %bb.3:
	v_cvt_f32_u32_e32 v0, s20
	s_waitcnt lgkmcnt(0)
	s_sub_i32 s11, 0, s20
	v_rcp_iflag_f32_e32 v0, v0
	s_nop 0
	v_mul_f32_e32 v0, 0x4f7ffffe, v0
	v_cvt_u32_f32_e32 v0, v0
	v_mul_lo_u32 v1, s11, v0
	v_mul_hi_u32 v1, v0, v1
	v_add_u32_e32 v0, v0, v1
	v_mul_hi_u32 v0, v2, v0
	v_mul_lo_u32 v1, v0, s20
	v_sub_u32_e32 v1, v2, v1
	v_add_u32_e32 v4, 1, v0
	v_subrev_u32_e32 v5, s20, v1
	v_cmp_le_u32_e32 vcc, s20, v1
	s_nop 1
	v_cndmask_b32_e32 v1, v1, v5, vcc
	v_cndmask_b32_e32 v0, v0, v4, vcc
	v_add_u32_e32 v4, 1, v0
	v_cmp_le_u32_e32 vcc, s20, v1
	v_mov_b32_e32 v1, 0
	s_nop 0
	v_cndmask_b32_e32 v0, v0, v4, vcc
.LBB92_4:
	s_or_b64 exec, exec, s[2:3]
	v_mul_lo_u32 v1, v1, s20
	v_mul_lo_u32 v6, v0, s21
	v_mad_u64_u32 v[4:5], s[2:3], v0, s20, 0
	v_add3_u32 v1, v5, v6, v1
	v_sub_co_u32_e32 v2, vcc, v2, v4
	s_nop 1
	v_subb_co_u32_e32 v3, vcc, v3, v1, vcc
	s_waitcnt lgkmcnt(0)
	v_cmp_gt_i64_e32 vcc, s[12:13], v[2:3]
	s_and_saveexec_b64 s[2:3], vcc
	s_cbranch_execz .LBB92_19
; %bb.5:
	s_load_dwordx2 s[2:3], s[16:17], 0x0
	v_ashrrev_i32_e32 v1, 31, v0
	s_waitcnt lgkmcnt(0)
	v_cmp_gt_i64_e32 vcc, s[2:3], v[0:1]
	s_and_b64 exec, exec, vcc
	s_cbranch_execz .LBB92_19
; %bb.6:
	v_lshl_add_u64 v[4:5], v[0:1], 2, s[14:15]
	global_load_dword v4, v[4:5], off
	s_add_u32 s2, s2, -1
	s_addc_u32 s3, s3, -1
	v_cmp_ne_u64_e32 vcc, s[2:3], v[0:1]
                                        ; implicit-def: $vgpr12
	s_and_saveexec_b64 s[2:3], vcc
	s_xor_b64 s[2:3], exec, s[2:3]
	s_cbranch_execz .LBB92_8
; %bb.7:
	s_mov_b32 s16, 0
	v_mov_b32_e32 v6, 0
	v_mov_b32_e32 v7, v0
	s_mov_b32 s17, 1
	v_lshl_add_u64 v[6:7], v[6:7], 0, s[16:17]
	v_ashrrev_i64 v[6:7], 30, v[6:7]
	v_lshl_add_u64 v[6:7], s[14:15], 0, v[6:7]
	global_load_dword v12, v[6:7], off
.LBB92_8:
	s_or_saveexec_b64 s[2:3], s[2:3]
	s_load_dwordx8 s[20:27], s[0:1], 0x40
	s_xor_b64 exec, exec, s[2:3]
	s_cbranch_execz .LBB92_10
; %bb.9:
	s_waitcnt vmcnt(0)
	v_mov_b32_e32 v12, s10
.LBB92_10:
	s_or_b64 exec, exec, s[2:3]
	s_waitcnt vmcnt(0)
	v_cmp_lt_i32_e32 vcc, v4, v12
	v_mov_b32_e32 v5, 0
	s_and_saveexec_b64 s[2:3], vcc
	s_cbranch_execz .LBB92_17
; %bb.11:
	s_cmp_lg_u64 s[8:9], 0
	v_ashrrev_i32_e32 v5, 31, v4
	s_cselect_b64 s[0:1], -1, 0
	v_mov_b32_e32 v6, s6
	v_mov_b32_e32 v7, s7
	v_lshlrev_b64 v[10:11], 2, v[4:5]
	v_cndmask_b32_e64 v13, 0, 1, s[0:1]
	v_lshl_add_u64 v[6:7], v[2:3], 1, v[6:7]
	s_mov_b64 s[6:7], 0
	v_lshl_add_u64 v[8:9], s[4:5], 0, v[10:11]
	v_lshl_add_u64 v[10:11], s[8:9], 0, v[10:11]
	v_mov_b32_e32 v5, 0
	v_cmp_ne_u32_e64 s[0:1], 1, v13
	s_branch .LBB92_14
.LBB92_12:                              ;   in Loop: Header=BB92_14 Depth=1
	global_load_dword v14, v[10:11], off
	s_waitcnt vmcnt(0)
	v_cvt_f32_i32_e32 v14, v14
	v_div_scale_f32 v15, s[4:5], v14, v14, 1.0
	v_rcp_f32_e32 v16, v15
	v_div_scale_f32 v17, vcc, 1.0, v14, 1.0
	v_fma_f32 v18, -v15, v16, 1.0
	v_fmac_f32_e32 v16, v18, v16
	v_mul_f32_e32 v18, v17, v16
	v_fma_f32 v19, -v15, v18, v17
	v_fmac_f32_e32 v18, v19, v16
	v_fma_f32 v15, -v15, v18, v17
	v_div_fmas_f32 v15, v15, v16, v18
	v_div_fixup_f32 v14, v15, v14, 1.0
.LBB92_13:                              ;   in Loop: Header=BB92_14 Depth=1
	s_waitcnt vmcnt(0)
	v_ashrrev_i32_e32 v15, 31, v13
	v_mul_lo_u32 v18, v13, s13
	v_mul_lo_u32 v15, v15, s12
	v_mad_u64_u32 v[16:17], s[4:5], v13, s12, 0
	v_add3_u32 v17, v17, v18, v15
	v_lshl_add_u64 v[16:17], v[16:17], 1, v[6:7]
	global_load_ushort v13, v[16:17], off
	v_add_u32_e32 v4, 1, v4
	v_cmp_ge_i32_e32 vcc, v4, v12
	v_lshl_add_u64 v[8:9], v[8:9], 0, 4
	s_or_b64 s[6:7], vcc, s[6:7]
	v_lshl_add_u64 v[10:11], v[10:11], 0, 4
	s_waitcnt vmcnt(0)
	v_lshlrev_b32_e32 v13, 16, v13
	v_fmac_f32_e32 v5, v14, v13
	s_andn2_b64 exec, exec, s[6:7]
	s_cbranch_execz .LBB92_16
.LBB92_14:                              ; =>This Inner Loop Header: Depth=1
	global_load_dword v13, v[8:9], off
	s_and_b64 vcc, exec, s[0:1]
	s_cbranch_vccz .LBB92_12
; %bb.15:                               ;   in Loop: Header=BB92_14 Depth=1
	v_mov_b32_e32 v14, 1.0
	s_branch .LBB92_13
.LBB92_16:
	s_or_b64 exec, exec, s[6:7]
.LBB92_17:
	s_or_b64 exec, exec, s[2:3]
	s_waitcnt lgkmcnt(0)
	v_mov_b32_e32 v6, s20
	v_mov_b32_e32 v7, s21
	v_lshl_add_u64 v[0:1], v[0:1], 2, v[6:7]
	global_load_dword v0, v[0:1], off
	v_mov_b32_e32 v6, s22
	v_mov_b32_e32 v7, s23
	s_waitcnt vmcnt(0)
	v_ashrrev_i32_e32 v1, 31, v0
	v_lshl_add_u64 v[0:1], v[0:1], 2, v[6:7]
	global_load_dword v0, v[0:1], off
	v_mov_b32_e32 v6, s18
	v_mov_b32_e32 v7, s19
	s_waitcnt vmcnt(0)
	v_ashrrev_i32_e32 v1, 31, v0
	v_lshl_add_u64 v[0:1], v[0:1], 2, v[6:7]
	global_load_dword v0, v[0:1], off
	s_waitcnt vmcnt(0)
	v_ashrrev_i32_e32 v1, 31, v0
	v_cmp_ne_u64_e32 vcc, s[26:27], v[0:1]
	s_and_b64 exec, exec, vcc
	s_cbranch_execz .LBB92_19
; %bb.18:
	v_mul_lo_u32 v4, v1, s12
	v_mul_lo_u32 v8, v0, s13
	v_mad_u64_u32 v[0:1], s[0:1], v0, s12, 0
	v_mov_b32_e32 v6, s24
	v_mov_b32_e32 v7, s25
	v_add3_u32 v1, v1, v8, v4
	v_lshl_add_u64 v[0:1], v[0:1], 2, v[6:7]
	v_lshl_add_u64 v[0:1], v[2:3], 2, v[0:1]
	global_atomic_add_f32 v[0:1], v5, off
.LBB92_19:
	s_endpgm
	.section	.rodata,"a",@progbits
	.p2align	6, 0x0
	.amdhsa_kernel _ZN2at6native12_GLOBAL__N_137compute_grad_weight_atomic_accumulateIN3c108BFloat16EfiEEvPKT1_PKT_S7_llS7_PKlS7_S7_S7_PT0_ll
		.amdhsa_group_segment_fixed_size 0
		.amdhsa_private_segment_fixed_size 0
		.amdhsa_kernarg_size 360
		.amdhsa_user_sgpr_count 2
		.amdhsa_user_sgpr_dispatch_ptr 0
		.amdhsa_user_sgpr_queue_ptr 0
		.amdhsa_user_sgpr_kernarg_segment_ptr 1
		.amdhsa_user_sgpr_dispatch_id 0
		.amdhsa_user_sgpr_kernarg_preload_length 0
		.amdhsa_user_sgpr_kernarg_preload_offset 0
		.amdhsa_user_sgpr_private_segment_size 0
		.amdhsa_uses_dynamic_stack 0
		.amdhsa_enable_private_segment 0
		.amdhsa_system_sgpr_workgroup_id_x 1
		.amdhsa_system_sgpr_workgroup_id_y 0
		.amdhsa_system_sgpr_workgroup_id_z 0
		.amdhsa_system_sgpr_workgroup_info 0
		.amdhsa_system_vgpr_workitem_id 0
		.amdhsa_next_free_vgpr 20
		.amdhsa_next_free_sgpr 28
		.amdhsa_accum_offset 20
		.amdhsa_reserve_vcc 1
		.amdhsa_float_round_mode_32 0
		.amdhsa_float_round_mode_16_64 0
		.amdhsa_float_denorm_mode_32 3
		.amdhsa_float_denorm_mode_16_64 3
		.amdhsa_dx10_clamp 1
		.amdhsa_ieee_mode 1
		.amdhsa_fp16_overflow 0
		.amdhsa_tg_split 0
		.amdhsa_exception_fp_ieee_invalid_op 0
		.amdhsa_exception_fp_denorm_src 0
		.amdhsa_exception_fp_ieee_div_zero 0
		.amdhsa_exception_fp_ieee_overflow 0
		.amdhsa_exception_fp_ieee_underflow 0
		.amdhsa_exception_fp_ieee_inexact 0
		.amdhsa_exception_int_div_zero 0
	.end_amdhsa_kernel
	.section	.text._ZN2at6native12_GLOBAL__N_137compute_grad_weight_atomic_accumulateIN3c108BFloat16EfiEEvPKT1_PKT_S7_llS7_PKlS7_S7_S7_PT0_ll,"axG",@progbits,_ZN2at6native12_GLOBAL__N_137compute_grad_weight_atomic_accumulateIN3c108BFloat16EfiEEvPKT1_PKT_S7_llS7_PKlS7_S7_S7_PT0_ll,comdat
.Lfunc_end92:
	.size	_ZN2at6native12_GLOBAL__N_137compute_grad_weight_atomic_accumulateIN3c108BFloat16EfiEEvPKT1_PKT_S7_llS7_PKlS7_S7_S7_PT0_ll, .Lfunc_end92-_ZN2at6native12_GLOBAL__N_137compute_grad_weight_atomic_accumulateIN3c108BFloat16EfiEEvPKT1_PKT_S7_llS7_PKlS7_S7_S7_PT0_ll
                                        ; -- End function
	.section	.AMDGPU.csdata,"",@progbits
; Kernel info:
; codeLenInByte = 1680
; NumSgprs: 34
; NumVgprs: 20
; NumAgprs: 0
; TotalNumVgprs: 20
; ScratchSize: 0
; MemoryBound: 0
; FloatMode: 240
; IeeeMode: 1
; LDSByteSize: 0 bytes/workgroup (compile time only)
; SGPRBlocks: 4
; VGPRBlocks: 2
; NumSGPRsForWavesPerEU: 34
; NumVGPRsForWavesPerEU: 20
; AccumOffset: 20
; Occupancy: 8
; WaveLimiterHint : 1
; COMPUTE_PGM_RSRC2:SCRATCH_EN: 0
; COMPUTE_PGM_RSRC2:USER_SGPR: 2
; COMPUTE_PGM_RSRC2:TRAP_HANDLER: 0
; COMPUTE_PGM_RSRC2:TGID_X_EN: 1
; COMPUTE_PGM_RSRC2:TGID_Y_EN: 0
; COMPUTE_PGM_RSRC2:TGID_Z_EN: 0
; COMPUTE_PGM_RSRC2:TIDIG_COMP_CNT: 0
; COMPUTE_PGM_RSRC3_GFX90A:ACCUM_OFFSET: 4
; COMPUTE_PGM_RSRC3_GFX90A:TG_SPLIT: 0
	.section	.text._ZN2at6native12_GLOBAL__N_124compute_grad_weight_bagsIN3c108BFloat16EiEEvPKT0_PKT_S7_S7_lliS7_SA_lS7_PKlPNS_14AccumulateTypeIS8_Lb1EE4typeEl,"axG",@progbits,_ZN2at6native12_GLOBAL__N_124compute_grad_weight_bagsIN3c108BFloat16EiEEvPKT0_PKT_S7_S7_lliS7_SA_lS7_PKlPNS_14AccumulateTypeIS8_Lb1EE4typeEl,comdat
	.globl	_ZN2at6native12_GLOBAL__N_124compute_grad_weight_bagsIN3c108BFloat16EiEEvPKT0_PKT_S7_S7_lliS7_SA_lS7_PKlPNS_14AccumulateTypeIS8_Lb1EE4typeEl ; -- Begin function _ZN2at6native12_GLOBAL__N_124compute_grad_weight_bagsIN3c108BFloat16EiEEvPKT0_PKT_S7_S7_lliS7_SA_lS7_PKlPNS_14AccumulateTypeIS8_Lb1EE4typeEl
	.p2align	8
	.type	_ZN2at6native12_GLOBAL__N_124compute_grad_weight_bagsIN3c108BFloat16EiEEvPKT0_PKT_S7_S7_lliS7_SA_lS7_PKlPNS_14AccumulateTypeIS8_Lb1EE4typeEl,@function
_ZN2at6native12_GLOBAL__N_124compute_grad_weight_bagsIN3c108BFloat16EiEEvPKT0_PKT_S7_S7_lliS7_SA_lS7_PKlPNS_14AccumulateTypeIS8_Lb1EE4typeEl: ; @_ZN2at6native12_GLOBAL__N_124compute_grad_weight_bagsIN3c108BFloat16EiEEvPKT0_PKT_S7_S7_lliS7_SA_lS7_PKlPNS_14AccumulateTypeIS8_Lb1EE4typeEl
; %bb.0:
	s_load_dword s3, s[0:1], 0x7c
	s_load_dwordx4 s[4:7], s[0:1], 0x58
	s_load_dwordx2 s[8:9], s[0:1], 0x68
	v_mov_b32_e32 v1, 0
	v_mov_b32_e32 v2, s2
	s_waitcnt lgkmcnt(0)
	s_and_b32 s3, s3, 0xffff
	v_mad_u64_u32 v[4:5], s[2:3], s3, v2, v[0:1]
	v_or_b32_e32 v3, s9, v5
	v_mov_b32_e32 v2, v1
	v_cmp_ne_u64_e32 vcc, 0, v[2:3]
                                        ; implicit-def: $vgpr2_vgpr3
	s_and_saveexec_b64 s[2:3], vcc
	s_xor_b64 s[10:11], exec, s[2:3]
	s_cbranch_execz .LBB93_2
; %bb.1:
	s_ashr_i32 s12, s9, 31
	s_add_u32 s2, s8, s12
	s_mov_b32 s13, s12
	s_addc_u32 s3, s9, s12
	s_xor_b64 s[14:15], s[2:3], s[12:13]
	v_cvt_f32_u32_e32 v0, s14
	v_cvt_f32_u32_e32 v2, s15
	s_sub_u32 s2, 0, s14
	s_subb_u32 s3, 0, s15
	v_fmamk_f32 v0, v2, 0x4f800000, v0
	v_rcp_f32_e32 v0, v0
	s_nop 0
	v_mul_f32_e32 v0, 0x5f7ffffc, v0
	v_mul_f32_e32 v2, 0x2f800000, v0
	v_trunc_f32_e32 v2, v2
	v_fmamk_f32 v0, v2, 0xcf800000, v0
	v_cvt_u32_f32_e32 v6, v2
	v_cvt_u32_f32_e32 v7, v0
	v_mul_lo_u32 v0, s2, v6
	v_mul_hi_u32 v3, s2, v7
	v_mul_lo_u32 v2, s3, v7
	v_add_u32_e32 v0, v3, v0
	v_mul_lo_u32 v8, s2, v7
	v_add_u32_e32 v9, v0, v2
	v_mul_hi_u32 v3, v7, v9
	v_mul_lo_u32 v2, v7, v9
	v_mul_hi_u32 v0, v7, v8
	v_lshl_add_u64 v[2:3], v[0:1], 0, v[2:3]
	v_mul_hi_u32 v0, v6, v8
	v_mul_lo_u32 v8, v6, v8
	v_add_co_u32_e32 v2, vcc, v2, v8
	v_mul_hi_u32 v10, v6, v9
	s_nop 0
	v_addc_co_u32_e32 v0, vcc, v3, v0, vcc
	v_mul_lo_u32 v2, v6, v9
	s_nop 0
	v_addc_co_u32_e32 v3, vcc, 0, v10, vcc
	v_lshl_add_u64 v[2:3], v[0:1], 0, v[2:3]
	v_add_co_u32_e32 v7, vcc, v7, v2
	v_mul_hi_u32 v2, s2, v7
	s_nop 0
	v_addc_co_u32_e32 v6, vcc, v6, v3, vcc
	v_mul_lo_u32 v0, s2, v6
	v_add_u32_e32 v0, v2, v0
	v_mul_lo_u32 v2, s3, v7
	v_add_u32_e32 v8, v0, v2
	v_mul_lo_u32 v0, s2, v7
	v_mul_hi_u32 v10, v6, v0
	v_mul_lo_u32 v11, v6, v0
	v_mul_hi_u32 v3, v7, v8
	;; [unrolled: 2-line block ×3, first 2 shown]
	v_lshl_add_u64 v[2:3], v[0:1], 0, v[2:3]
	v_add_co_u32_e32 v0, vcc, v2, v11
	v_mul_hi_u32 v9, v6, v8
	s_nop 0
	v_addc_co_u32_e32 v0, vcc, v3, v10, vcc
	v_mul_lo_u32 v2, v6, v8
	s_nop 0
	v_addc_co_u32_e32 v3, vcc, 0, v9, vcc
	v_lshl_add_u64 v[2:3], v[0:1], 0, v[2:3]
	v_add_co_u32_e32 v10, vcc, v7, v2
	v_ashrrev_i32_e32 v2, 31, v5
	s_nop 0
	v_addc_co_u32_e32 v8, vcc, v6, v3, vcc
	v_mov_b32_e32 v3, v2
	v_lshl_add_u64 v[6:7], v[4:5], 0, v[2:3]
	v_xor_b32_e32 v12, v6, v2
	v_xor_b32_e32 v3, v7, v2
	v_mad_u64_u32 v[6:7], s[2:3], v12, v8, 0
	v_mul_hi_u32 v0, v12, v10
	v_lshl_add_u64 v[6:7], v[0:1], 0, v[6:7]
	v_mad_u64_u32 v[10:11], s[2:3], v3, v10, 0
	v_add_co_u32_e32 v0, vcc, v6, v10
	v_mad_u64_u32 v[8:9], s[2:3], v3, v8, 0
	s_nop 0
	v_addc_co_u32_e32 v0, vcc, v7, v11, vcc
	s_nop 1
	v_addc_co_u32_e32 v9, vcc, 0, v9, vcc
	v_lshl_add_u64 v[0:1], v[0:1], 0, v[8:9]
	v_mul_lo_u32 v8, s15, v0
	v_mul_lo_u32 v9, s14, v1
	v_mad_u64_u32 v[6:7], s[2:3], s14, v0, 0
	v_add3_u32 v10, v7, v9, v8
	v_sub_u32_e32 v7, v3, v10
	v_mov_b32_e32 v8, s15
	v_sub_co_u32_e32 v11, vcc, v12, v6
	s_nop 1
	v_subb_co_u32_e64 v6, s[2:3], v7, v8, vcc
	v_subrev_co_u32_e64 v7, s[2:3], s14, v11
	v_subb_co_u32_e32 v3, vcc, v3, v10, vcc
	s_nop 0
	v_subbrev_co_u32_e64 v6, s[2:3], 0, v6, s[2:3]
	v_cmp_le_u32_e64 s[2:3], s15, v6
	v_cmp_le_u32_e32 vcc, s15, v3
	s_nop 0
	v_cndmask_b32_e64 v8, 0, -1, s[2:3]
	v_cmp_le_u32_e64 s[2:3], s14, v7
	s_nop 1
	v_cndmask_b32_e64 v7, 0, -1, s[2:3]
	v_cmp_eq_u32_e64 s[2:3], s15, v6
	s_nop 1
	v_cndmask_b32_e64 v12, v8, v7, s[2:3]
	v_lshl_add_u64 v[6:7], v[0:1], 0, 2
	v_lshl_add_u64 v[8:9], v[0:1], 0, 1
	v_cmp_ne_u32_e64 s[2:3], 0, v12
	s_nop 1
	v_cndmask_b32_e64 v7, v9, v7, s[2:3]
	v_cndmask_b32_e64 v9, 0, -1, vcc
	v_cmp_le_u32_e32 vcc, s14, v11
	s_nop 1
	v_cndmask_b32_e64 v10, 0, -1, vcc
	v_cmp_eq_u32_e32 vcc, s15, v3
	s_nop 1
	v_cndmask_b32_e32 v3, v9, v10, vcc
	v_cmp_ne_u32_e32 vcc, 0, v3
	v_cndmask_b32_e64 v3, v8, v6, s[2:3]
	s_nop 0
	v_cndmask_b32_e32 v0, v0, v3, vcc
	v_xor_b32_e32 v3, s12, v2
	v_cndmask_b32_e32 v1, v1, v7, vcc
	v_xor_b32_e32 v0, v0, v3
	v_xor_b32_e32 v1, v1, v3
	v_sub_co_u32_e32 v2, vcc, v0, v3
	s_nop 1
	v_subb_co_u32_e32 v3, vcc, v1, v3, vcc
.LBB93_2:
	s_or_saveexec_b64 s[2:3], s[10:11]
	s_load_dwordx2 s[4:5], s[4:5], 0x0
	s_xor_b64 exec, exec, s[2:3]
	s_cbranch_execz .LBB93_4
; %bb.3:
	v_cvt_f32_u32_e32 v0, s8
	s_sub_i32 s10, 0, s8
	v_rcp_iflag_f32_e32 v0, v0
	s_nop 0
	v_mul_f32_e32 v0, 0x4f7ffffe, v0
	v_cvt_u32_f32_e32 v0, v0
	v_mul_lo_u32 v1, s10, v0
	v_mul_hi_u32 v1, v0, v1
	v_add_u32_e32 v0, v0, v1
	v_mul_hi_u32 v0, v4, v0
	v_mul_lo_u32 v1, v0, s8
	v_sub_u32_e32 v1, v4, v1
	v_add_u32_e32 v2, 1, v0
	v_subrev_u32_e32 v3, s8, v1
	v_cmp_le_u32_e32 vcc, s8, v1
	s_nop 1
	v_cndmask_b32_e32 v1, v1, v3, vcc
	v_cndmask_b32_e32 v0, v0, v2, vcc
	v_add_u32_e32 v2, 1, v0
	v_cmp_le_u32_e32 vcc, s8, v1
	v_mov_b32_e32 v3, 0
	s_nop 0
	v_cndmask_b32_e32 v2, v0, v2, vcc
.LBB93_4:
	s_or_b64 exec, exec, s[2:3]
	s_load_dwordx4 s[24:27], s[0:1], 0x20
	v_mul_lo_u32 v6, v3, s8
	v_mul_lo_u32 v7, v2, s9
	v_mad_u64_u32 v[0:1], s[2:3], v2, s8, 0
	v_add3_u32 v1, v1, v7, v6
	v_sub_co_u32_e32 v0, vcc, v4, v0
	s_waitcnt lgkmcnt(0)
	v_cmp_gt_i64_e64 s[2:3], s[4:5], v[2:3]
	v_subb_co_u32_e32 v1, vcc, v5, v1, vcc
	v_cmp_gt_i64_e32 vcc, s[26:27], v[0:1]
	s_and_b64 s[2:3], vcc, s[2:3]
	s_and_saveexec_b64 s[8:9], s[2:3]
	s_cbranch_execz .LBB93_20
; %bb.5:
	s_load_dwordx8 s[8:15], s[0:1], 0x38
	s_load_dwordx8 s[16:23], s[0:1], 0x0
	s_add_u32 s2, s4, -1
	s_addc_u32 s3, s5, -1
	v_cmp_ne_u64_e32 vcc, s[2:3], v[2:3]
	s_waitcnt lgkmcnt(0)
	v_mov_b32_e32 v4, s14
	v_mov_b32_e32 v5, s15
	v_lshl_add_u64 v[6:7], v[2:3], 2, v[4:5]
	global_load_dword v4, v[6:7], off
                                        ; implicit-def: $vgpr18
	s_and_saveexec_b64 s[2:3], vcc
	s_xor_b64 s[2:3], exec, s[2:3]
	s_cbranch_execz .LBB93_7
; %bb.6:
	global_load_dword v18, v[6:7], off offset:4
.LBB93_7:
	s_andn2_saveexec_b64 s[2:3], s[2:3]
	s_cbranch_execz .LBB93_9
; %bb.8:
	s_waitcnt vmcnt(0)
	v_mov_b32_e32 v18, s24
.LBB93_9:
	s_or_b64 exec, exec, s[2:3]
	s_waitcnt vmcnt(0)
	v_cmp_lt_i32_e32 vcc, v4, v18
	v_mov_b32_e32 v5, 0
	s_and_saveexec_b64 s[14:15], vcc
	s_cbranch_execz .LBB93_19
; %bb.10:
	s_load_dword s4, s[0:1], 0x30
	s_cmp_lg_u64 s[22:23], 0
	s_cselect_b64 s[0:1], -1, 0
	s_cmp_lg_u64 s[10:11], 0
	s_cselect_b64 s[2:3], -1, 0
	s_waitcnt lgkmcnt(0)
	s_cmp_lg_u32 s4, 0
	v_cndmask_b32_e64 v12, 0, 1, s[0:1]
	v_ashrrev_i32_e32 v5, 31, v4
	v_cmp_ne_u32_e64 s[0:1], 1, v12
	v_cndmask_b32_e64 v12, 0, 1, s[2:3]
	s_cselect_b64 s[4:5], -1, 0
	v_mov_b32_e32 v6, s18
	v_mov_b32_e32 v7, s19
	v_lshlrev_b64 v[10:11], 2, v[4:5]
	v_cmp_ne_u32_e64 s[2:3], 1, v12
	v_cndmask_b32_e64 v12, 0, 1, s[4:5]
	s_mov_b64 s[18:19], 0
	v_lshl_add_u64 v[6:7], v[0:1], 1, v[6:7]
	v_lshl_add_u64 v[8:9], s[16:17], 0, v[10:11]
	;; [unrolled: 1-line block ×3, first 2 shown]
	v_mov_b32_e32 v5, 0
	v_cmp_ne_u32_e64 s[4:5], 1, v12
	s_branch .LBB93_12
.LBB93_11:                              ;   in Loop: Header=BB93_12 Depth=1
	v_add_u32_e32 v4, 1, v4
	v_cmp_ge_i32_e32 vcc, v4, v18
	v_fmac_f32_e32 v5, v16, v14
	v_lshl_add_u64 v[8:9], v[8:9], 0, 4
	s_or_b64 s[18:19], vcc, s[18:19]
	v_lshl_add_u64 v[10:11], v[10:11], 0, 4
	s_andn2_b64 exec, exec, s[18:19]
	s_cbranch_execz .LBB93_18
.LBB93_12:                              ; =>This Inner Loop Header: Depth=1
	global_load_dword v14, v[8:9], off
	s_and_b64 vcc, exec, s[0:1]
	s_waitcnt vmcnt(0)
	v_ashrrev_i32_e32 v15, 31, v14
	v_lshl_add_u64 v[12:13], v[14:15], 2, s[20:21]
	global_load_dword v12, v[12:13], off
	s_cbranch_vccnz .LBB93_17
; %bb.13:                               ;   in Loop: Header=BB93_12 Depth=1
	global_load_dword v13, v[10:11], off
	s_waitcnt vmcnt(0)
	v_cvt_f64_i32_e32 v[16:17], v13
	v_div_scale_f64 v[20:21], s[16:17], v[16:17], v[16:17], 1.0
	v_rcp_f64_e32 v[22:23], v[20:21]
	v_div_scale_f64 v[24:25], vcc, 1.0, v[16:17], 1.0
	v_fma_f64 v[26:27], -v[20:21], v[22:23], 1.0
	v_fmac_f64_e32 v[22:23], v[22:23], v[26:27]
	v_fma_f64 v[26:27], -v[20:21], v[22:23], 1.0
	v_fmac_f64_e32 v[22:23], v[22:23], v[26:27]
	v_mul_f64 v[26:27], v[24:25], v[22:23]
	v_fma_f64 v[20:21], -v[20:21], v[26:27], v[24:25]
	v_div_fmas_f64 v[20:21], v[20:21], v[22:23], v[26:27]
	v_div_fixup_f64 v[16:17], v[20:21], v[16:17], 1.0
	s_and_b64 vcc, exec, s[2:3]
	v_cvt_f32_f64_e32 v16, v[16:17]
	s_cbranch_vccnz .LBB93_15
.LBB93_14:                              ;   in Loop: Header=BB93_12 Depth=1
	v_mul_lo_u32 v13, v15, s12
	v_mul_lo_u32 v17, v14, s13
	v_mad_u64_u32 v[14:15], s[16:17], v14, s12, 0
	v_add3_u32 v15, v15, v17, v13
	v_lshl_add_u64 v[14:15], v[14:15], 1, s[10:11]
	global_load_ushort v13, v[14:15], off
	s_waitcnt vmcnt(0)
	v_lshlrev_b32_e32 v13, 16, v13
	v_mul_f32_e32 v16, v16, v13
.LBB93_15:                              ;   in Loop: Header=BB93_12 Depth=1
	s_waitcnt vmcnt(0)
	v_mul_lo_u32 v14, v12, s26
	v_ashrrev_i32_e32 v15, 31, v14
	v_lshl_add_u64 v[14:15], v[14:15], 1, v[6:7]
	global_load_ushort v13, v[14:15], off
	s_and_b64 vcc, exec, s[4:5]
	s_waitcnt vmcnt(0)
	v_lshlrev_b32_e32 v14, 16, v13
	s_cbranch_vccnz .LBB93_11
; %bb.16:                               ;   in Loop: Header=BB93_12 Depth=1
	v_ashrrev_i32_e32 v13, 31, v12
	v_lshl_add_u64 v[12:13], v[12:13], 2, s[8:9]
	global_load_dword v12, v[12:13], off
	s_waitcnt vmcnt(0)
	v_cvt_f32_i32_e32 v12, v12
	v_div_scale_f32 v13, s[16:17], v12, v12, v14
	v_rcp_f32_e32 v15, v13
	v_div_scale_f32 v17, vcc, v14, v12, v14
	v_fma_f32 v19, -v13, v15, 1.0
	v_fmac_f32_e32 v15, v19, v15
	v_mul_f32_e32 v19, v17, v15
	v_fma_f32 v20, -v13, v19, v17
	v_fmac_f32_e32 v19, v20, v15
	v_fma_f32 v13, -v13, v19, v17
	v_div_fmas_f32 v13, v13, v15, v19
	v_div_fixup_f32 v14, v13, v12, v14
	s_branch .LBB93_11
.LBB93_17:                              ;   in Loop: Header=BB93_12 Depth=1
	v_mov_b64_e32 v[16:17], 1.0
	s_and_b64 vcc, exec, s[2:3]
	v_cvt_f32_f64_e32 v16, v[16:17]
	s_cbranch_vccz .LBB93_14
	s_branch .LBB93_15
.LBB93_18:
	s_or_b64 exec, exec, s[18:19]
.LBB93_19:
	s_or_b64 exec, exec, s[14:15]
	v_mul_lo_u32 v4, v3, s26
	v_mul_lo_u32 v8, v2, s27
	v_mad_u64_u32 v[2:3], s[0:1], v2, s26, 0
	v_mov_b32_e32 v6, s6
	v_mov_b32_e32 v7, s7
	v_add3_u32 v3, v3, v8, v4
	v_lshl_add_u64 v[2:3], v[2:3], 2, v[6:7]
	v_lshl_add_u64 v[0:1], v[0:1], 2, v[2:3]
	global_store_dword v[0:1], v5, off
.LBB93_20:
	s_endpgm
	.section	.rodata,"a",@progbits
	.p2align	6, 0x0
	.amdhsa_kernel _ZN2at6native12_GLOBAL__N_124compute_grad_weight_bagsIN3c108BFloat16EiEEvPKT0_PKT_S7_S7_lliS7_SA_lS7_PKlPNS_14AccumulateTypeIS8_Lb1EE4typeEl
		.amdhsa_group_segment_fixed_size 0
		.amdhsa_private_segment_fixed_size 0
		.amdhsa_kernarg_size 368
		.amdhsa_user_sgpr_count 2
		.amdhsa_user_sgpr_dispatch_ptr 0
		.amdhsa_user_sgpr_queue_ptr 0
		.amdhsa_user_sgpr_kernarg_segment_ptr 1
		.amdhsa_user_sgpr_dispatch_id 0
		.amdhsa_user_sgpr_kernarg_preload_length 0
		.amdhsa_user_sgpr_kernarg_preload_offset 0
		.amdhsa_user_sgpr_private_segment_size 0
		.amdhsa_uses_dynamic_stack 0
		.amdhsa_enable_private_segment 0
		.amdhsa_system_sgpr_workgroup_id_x 1
		.amdhsa_system_sgpr_workgroup_id_y 0
		.amdhsa_system_sgpr_workgroup_id_z 0
		.amdhsa_system_sgpr_workgroup_info 0
		.amdhsa_system_vgpr_workitem_id 0
		.amdhsa_next_free_vgpr 28
		.amdhsa_next_free_sgpr 28
		.amdhsa_accum_offset 28
		.amdhsa_reserve_vcc 1
		.amdhsa_float_round_mode_32 0
		.amdhsa_float_round_mode_16_64 0
		.amdhsa_float_denorm_mode_32 3
		.amdhsa_float_denorm_mode_16_64 3
		.amdhsa_dx10_clamp 1
		.amdhsa_ieee_mode 1
		.amdhsa_fp16_overflow 0
		.amdhsa_tg_split 0
		.amdhsa_exception_fp_ieee_invalid_op 0
		.amdhsa_exception_fp_denorm_src 0
		.amdhsa_exception_fp_ieee_div_zero 0
		.amdhsa_exception_fp_ieee_overflow 0
		.amdhsa_exception_fp_ieee_underflow 0
		.amdhsa_exception_fp_ieee_inexact 0
		.amdhsa_exception_int_div_zero 0
	.end_amdhsa_kernel
	.section	.text._ZN2at6native12_GLOBAL__N_124compute_grad_weight_bagsIN3c108BFloat16EiEEvPKT0_PKT_S7_S7_lliS7_SA_lS7_PKlPNS_14AccumulateTypeIS8_Lb1EE4typeEl,"axG",@progbits,_ZN2at6native12_GLOBAL__N_124compute_grad_weight_bagsIN3c108BFloat16EiEEvPKT0_PKT_S7_S7_lliS7_SA_lS7_PKlPNS_14AccumulateTypeIS8_Lb1EE4typeEl,comdat
.Lfunc_end93:
	.size	_ZN2at6native12_GLOBAL__N_124compute_grad_weight_bagsIN3c108BFloat16EiEEvPKT0_PKT_S7_S7_lliS7_SA_lS7_PKlPNS_14AccumulateTypeIS8_Lb1EE4typeEl, .Lfunc_end93-_ZN2at6native12_GLOBAL__N_124compute_grad_weight_bagsIN3c108BFloat16EiEEvPKT0_PKT_S7_S7_lliS7_SA_lS7_PKlPNS_14AccumulateTypeIS8_Lb1EE4typeEl
                                        ; -- End function
	.section	.AMDGPU.csdata,"",@progbits
; Kernel info:
; codeLenInByte = 1768
; NumSgprs: 34
; NumVgprs: 28
; NumAgprs: 0
; TotalNumVgprs: 28
; ScratchSize: 0
; MemoryBound: 0
; FloatMode: 240
; IeeeMode: 1
; LDSByteSize: 0 bytes/workgroup (compile time only)
; SGPRBlocks: 4
; VGPRBlocks: 3
; NumSGPRsForWavesPerEU: 34
; NumVGPRsForWavesPerEU: 28
; AccumOffset: 28
; Occupancy: 8
; WaveLimiterHint : 1
; COMPUTE_PGM_RSRC2:SCRATCH_EN: 0
; COMPUTE_PGM_RSRC2:USER_SGPR: 2
; COMPUTE_PGM_RSRC2:TRAP_HANDLER: 0
; COMPUTE_PGM_RSRC2:TGID_X_EN: 1
; COMPUTE_PGM_RSRC2:TGID_Y_EN: 0
; COMPUTE_PGM_RSRC2:TGID_Z_EN: 0
; COMPUTE_PGM_RSRC2:TIDIG_COMP_CNT: 0
; COMPUTE_PGM_RSRC3_GFX90A:ACCUM_OFFSET: 6
; COMPUTE_PGM_RSRC3_GFX90A:TG_SPLIT: 0
	.section	.text._ZN2at6native12_GLOBAL__N_119compute_grad_weightIN3c108BFloat16EiEEvPKT0_PKT_S7_llS7_PKlPNS_14AccumulateTypeIS8_Lb1EE4typeEl,"axG",@progbits,_ZN2at6native12_GLOBAL__N_119compute_grad_weightIN3c108BFloat16EiEEvPKT0_PKT_S7_llS7_PKlPNS_14AccumulateTypeIS8_Lb1EE4typeEl,comdat
	.globl	_ZN2at6native12_GLOBAL__N_119compute_grad_weightIN3c108BFloat16EiEEvPKT0_PKT_S7_llS7_PKlPNS_14AccumulateTypeIS8_Lb1EE4typeEl ; -- Begin function _ZN2at6native12_GLOBAL__N_119compute_grad_weightIN3c108BFloat16EiEEvPKT0_PKT_S7_llS7_PKlPNS_14AccumulateTypeIS8_Lb1EE4typeEl
	.p2align	8
	.type	_ZN2at6native12_GLOBAL__N_119compute_grad_weightIN3c108BFloat16EiEEvPKT0_PKT_S7_llS7_PKlPNS_14AccumulateTypeIS8_Lb1EE4typeEl,@function
_ZN2at6native12_GLOBAL__N_119compute_grad_weightIN3c108BFloat16EiEEvPKT0_PKT_S7_llS7_PKlPNS_14AccumulateTypeIS8_Lb1EE4typeEl: ; @_ZN2at6native12_GLOBAL__N_119compute_grad_weightIN3c108BFloat16EiEEvPKT0_PKT_S7_llS7_PKlPNS_14AccumulateTypeIS8_Lb1EE4typeEl
; %bb.0:
	s_load_dword s3, s[0:1], 0x54
	s_load_dwordx2 s[20:21], s[0:1], 0x40
	s_load_dwordx16 s[4:19], s[0:1], 0x0
	v_mov_b32_e32 v1, 0
	v_mov_b32_e32 v2, s2
	s_waitcnt lgkmcnt(0)
	s_and_b32 s0, s3, 0xffff
	v_mad_u64_u32 v[2:3], s[0:1], s0, v2, v[0:1]
	v_or_b32_e32 v5, s21, v3
	v_mov_b32_e32 v4, v1
	v_cmp_ne_u64_e32 vcc, 0, v[4:5]
                                        ; implicit-def: $vgpr4_vgpr5
	s_and_saveexec_b64 s[0:1], vcc
	s_xor_b64 s[2:3], exec, s[0:1]
	s_cbranch_execz .LBB94_2
; %bb.1:
	s_ashr_i32 s22, s21, 31
	s_add_u32 s0, s20, s22
	s_mov_b32 s23, s22
	s_addc_u32 s1, s21, s22
	s_xor_b64 s[24:25], s[0:1], s[22:23]
	v_cvt_f32_u32_e32 v0, s24
	v_cvt_f32_u32_e32 v4, s25
	s_sub_u32 s0, 0, s24
	s_subb_u32 s1, 0, s25
	v_fmamk_f32 v0, v4, 0x4f800000, v0
	v_rcp_f32_e32 v0, v0
	s_nop 0
	v_mul_f32_e32 v0, 0x5f7ffffc, v0
	v_mul_f32_e32 v4, 0x2f800000, v0
	v_trunc_f32_e32 v4, v4
	v_fmamk_f32 v0, v4, 0xcf800000, v0
	v_cvt_u32_f32_e32 v6, v4
	v_cvt_u32_f32_e32 v7, v0
	v_mul_lo_u32 v0, s0, v6
	v_mul_hi_u32 v5, s0, v7
	v_mul_lo_u32 v4, s1, v7
	v_add_u32_e32 v0, v5, v0
	v_mul_lo_u32 v8, s0, v7
	v_add_u32_e32 v9, v0, v4
	v_mul_hi_u32 v5, v7, v9
	v_mul_lo_u32 v4, v7, v9
	v_mul_hi_u32 v0, v7, v8
	v_lshl_add_u64 v[4:5], v[0:1], 0, v[4:5]
	v_mul_hi_u32 v0, v6, v8
	v_mul_lo_u32 v8, v6, v8
	v_add_co_u32_e32 v4, vcc, v4, v8
	v_mul_hi_u32 v10, v6, v9
	s_nop 0
	v_addc_co_u32_e32 v0, vcc, v5, v0, vcc
	v_mul_lo_u32 v4, v6, v9
	s_nop 0
	v_addc_co_u32_e32 v5, vcc, 0, v10, vcc
	v_lshl_add_u64 v[4:5], v[0:1], 0, v[4:5]
	v_add_co_u32_e32 v7, vcc, v7, v4
	v_mul_hi_u32 v4, s0, v7
	s_nop 0
	v_addc_co_u32_e32 v6, vcc, v6, v5, vcc
	v_mul_lo_u32 v0, s0, v6
	v_add_u32_e32 v0, v4, v0
	v_mul_lo_u32 v4, s1, v7
	v_add_u32_e32 v8, v0, v4
	v_mul_lo_u32 v0, s0, v7
	v_mul_hi_u32 v10, v6, v0
	v_mul_lo_u32 v11, v6, v0
	v_mul_hi_u32 v5, v7, v8
	;; [unrolled: 2-line block ×3, first 2 shown]
	v_lshl_add_u64 v[4:5], v[0:1], 0, v[4:5]
	v_add_co_u32_e32 v0, vcc, v4, v11
	v_mul_hi_u32 v9, v6, v8
	s_nop 0
	v_addc_co_u32_e32 v0, vcc, v5, v10, vcc
	v_mul_lo_u32 v4, v6, v8
	s_nop 0
	v_addc_co_u32_e32 v5, vcc, 0, v9, vcc
	v_lshl_add_u64 v[4:5], v[0:1], 0, v[4:5]
	v_add_co_u32_e32 v10, vcc, v7, v4
	v_ashrrev_i32_e32 v4, 31, v3
	s_nop 0
	v_addc_co_u32_e32 v8, vcc, v6, v5, vcc
	v_mov_b32_e32 v5, v4
	v_lshl_add_u64 v[6:7], v[2:3], 0, v[4:5]
	v_xor_b32_e32 v12, v6, v4
	v_xor_b32_e32 v5, v7, v4
	v_mad_u64_u32 v[6:7], s[0:1], v12, v8, 0
	v_mul_hi_u32 v0, v12, v10
	v_lshl_add_u64 v[6:7], v[0:1], 0, v[6:7]
	v_mad_u64_u32 v[10:11], s[0:1], v5, v10, 0
	v_add_co_u32_e32 v0, vcc, v6, v10
	v_mad_u64_u32 v[8:9], s[0:1], v5, v8, 0
	s_nop 0
	v_addc_co_u32_e32 v0, vcc, v7, v11, vcc
	s_nop 1
	v_addc_co_u32_e32 v9, vcc, 0, v9, vcc
	v_lshl_add_u64 v[0:1], v[0:1], 0, v[8:9]
	v_mul_lo_u32 v8, s25, v0
	v_mul_lo_u32 v9, s24, v1
	v_mad_u64_u32 v[6:7], s[0:1], s24, v0, 0
	v_add3_u32 v10, v7, v9, v8
	v_sub_u32_e32 v7, v5, v10
	v_mov_b32_e32 v8, s25
	v_sub_co_u32_e32 v11, vcc, v12, v6
	s_nop 1
	v_subb_co_u32_e64 v6, s[0:1], v7, v8, vcc
	v_subrev_co_u32_e64 v7, s[0:1], s24, v11
	v_subb_co_u32_e32 v5, vcc, v5, v10, vcc
	s_nop 0
	v_subbrev_co_u32_e64 v6, s[0:1], 0, v6, s[0:1]
	v_cmp_le_u32_e64 s[0:1], s25, v6
	v_cmp_le_u32_e32 vcc, s25, v5
	s_nop 0
	v_cndmask_b32_e64 v8, 0, -1, s[0:1]
	v_cmp_le_u32_e64 s[0:1], s24, v7
	s_nop 1
	v_cndmask_b32_e64 v7, 0, -1, s[0:1]
	v_cmp_eq_u32_e64 s[0:1], s25, v6
	s_nop 1
	v_cndmask_b32_e64 v12, v8, v7, s[0:1]
	v_lshl_add_u64 v[6:7], v[0:1], 0, 2
	v_lshl_add_u64 v[8:9], v[0:1], 0, 1
	v_cmp_ne_u32_e64 s[0:1], 0, v12
	s_nop 1
	v_cndmask_b32_e64 v7, v9, v7, s[0:1]
	v_cndmask_b32_e64 v9, 0, -1, vcc
	v_cmp_le_u32_e32 vcc, s24, v11
	s_nop 1
	v_cndmask_b32_e64 v10, 0, -1, vcc
	v_cmp_eq_u32_e32 vcc, s25, v5
	s_nop 1
	v_cndmask_b32_e32 v5, v9, v10, vcc
	v_cmp_ne_u32_e32 vcc, 0, v5
	v_cndmask_b32_e64 v5, v8, v6, s[0:1]
	s_nop 0
	v_cndmask_b32_e32 v0, v0, v5, vcc
	v_xor_b32_e32 v5, s22, v4
	v_cndmask_b32_e32 v1, v1, v7, vcc
	v_xor_b32_e32 v0, v0, v5
	v_xor_b32_e32 v1, v1, v5
	v_sub_co_u32_e32 v4, vcc, v0, v5
	s_nop 1
	v_subb_co_u32_e32 v5, vcc, v1, v5, vcc
.LBB94_2:
	s_or_saveexec_b64 s[0:1], s[2:3]
	s_load_dwordx2 s[2:3], s[16:17], 0x0
	s_xor_b64 exec, exec, s[0:1]
	s_cbranch_execz .LBB94_4
; %bb.3:
	v_cvt_f32_u32_e32 v0, s20
	s_sub_i32 s11, 0, s20
	v_rcp_iflag_f32_e32 v0, v0
	s_nop 0
	v_mul_f32_e32 v0, 0x4f7ffffe, v0
	v_cvt_u32_f32_e32 v0, v0
	v_mul_lo_u32 v1, s11, v0
	v_mul_hi_u32 v1, v0, v1
	v_add_u32_e32 v0, v0, v1
	v_mul_hi_u32 v0, v2, v0
	v_mul_lo_u32 v1, v0, s20
	v_sub_u32_e32 v1, v2, v1
	v_add_u32_e32 v4, 1, v0
	v_subrev_u32_e32 v5, s20, v1
	v_cmp_le_u32_e32 vcc, s20, v1
	s_nop 1
	v_cndmask_b32_e32 v1, v1, v5, vcc
	v_cndmask_b32_e32 v0, v0, v4, vcc
	v_add_u32_e32 v4, 1, v0
	v_cmp_le_u32_e32 vcc, s20, v1
	v_mov_b32_e32 v5, 0
	s_nop 0
	v_cndmask_b32_e32 v4, v0, v4, vcc
.LBB94_4:
	s_or_b64 exec, exec, s[0:1]
	v_mul_lo_u32 v6, v5, s20
	v_mul_lo_u32 v7, v4, s21
	v_mad_u64_u32 v[0:1], s[0:1], v4, s20, 0
	v_add3_u32 v1, v1, v7, v6
	v_sub_co_u32_e32 v0, vcc, v2, v0
	s_waitcnt lgkmcnt(0)
	v_cmp_gt_i64_e64 s[0:1], s[2:3], v[4:5]
	v_subb_co_u32_e32 v1, vcc, v3, v1, vcc
	v_cmp_gt_i64_e32 vcc, s[12:13], v[0:1]
	s_and_b64 s[0:1], vcc, s[0:1]
	s_and_saveexec_b64 s[16:17], s[0:1]
	s_cbranch_execz .LBB94_17
; %bb.5:
	v_mov_b32_e32 v2, s14
	v_mov_b32_e32 v3, s15
	v_lshl_add_u64 v[6:7], v[4:5], 2, v[2:3]
	global_load_dword v2, v[6:7], off
	s_add_u32 s0, s2, -1
	s_addc_u32 s1, s3, -1
	v_cmp_ne_u64_e32 vcc, s[0:1], v[4:5]
                                        ; implicit-def: $vgpr12
	s_and_saveexec_b64 s[0:1], vcc
	s_xor_b64 s[0:1], exec, s[0:1]
	s_cbranch_execz .LBB94_7
; %bb.6:
	global_load_dword v12, v[6:7], off offset:4
.LBB94_7:
	s_andn2_saveexec_b64 s[0:1], s[0:1]
	s_cbranch_execz .LBB94_9
; %bb.8:
	s_waitcnt vmcnt(0)
	v_mov_b32_e32 v12, s10
.LBB94_9:
	s_or_b64 exec, exec, s[0:1]
	s_waitcnt vmcnt(0)
	v_cmp_lt_i32_e32 vcc, v2, v12
	v_mov_b32_e32 v3, 0
	s_and_saveexec_b64 s[2:3], vcc
	s_cbranch_execz .LBB94_16
; %bb.10:
	s_cmp_lg_u64 s[8:9], 0
	v_ashrrev_i32_e32 v3, 31, v2
	s_cselect_b64 s[0:1], -1, 0
	v_mov_b32_e32 v6, s6
	v_mov_b32_e32 v7, s7
	v_lshlrev_b64 v[10:11], 2, v[2:3]
	v_cndmask_b32_e64 v13, 0, 1, s[0:1]
	v_lshl_add_u64 v[6:7], v[0:1], 1, v[6:7]
	s_mov_b64 s[6:7], 0
	v_lshl_add_u64 v[8:9], s[4:5], 0, v[10:11]
	v_lshl_add_u64 v[10:11], s[8:9], 0, v[10:11]
	v_mov_b32_e32 v3, 0
	v_cmp_ne_u32_e64 s[0:1], 1, v13
	s_branch .LBB94_13
.LBB94_11:                              ;   in Loop: Header=BB94_13 Depth=1
	global_load_dword v14, v[10:11], off
	s_waitcnt vmcnt(0)
	v_cvt_f32_i32_e32 v14, v14
	v_div_scale_f32 v15, s[4:5], v14, v14, 1.0
	v_rcp_f32_e32 v16, v15
	v_div_scale_f32 v17, vcc, 1.0, v14, 1.0
	v_fma_f32 v18, -v15, v16, 1.0
	v_fmac_f32_e32 v16, v18, v16
	v_mul_f32_e32 v18, v17, v16
	v_fma_f32 v19, -v15, v18, v17
	v_fmac_f32_e32 v18, v19, v16
	v_fma_f32 v15, -v15, v18, v17
	v_div_fmas_f32 v15, v15, v16, v18
	v_div_fixup_f32 v14, v15, v14, 1.0
.LBB94_12:                              ;   in Loop: Header=BB94_13 Depth=1
	s_waitcnt vmcnt(0)
	v_ashrrev_i32_e32 v15, 31, v13
	v_mul_lo_u32 v18, v13, s13
	v_mul_lo_u32 v15, v15, s12
	v_mad_u64_u32 v[16:17], s[4:5], v13, s12, 0
	v_add3_u32 v17, v17, v18, v15
	v_lshl_add_u64 v[16:17], v[16:17], 1, v[6:7]
	global_load_ushort v13, v[16:17], off
	v_add_u32_e32 v2, 1, v2
	v_cmp_ge_i32_e32 vcc, v2, v12
	v_lshl_add_u64 v[8:9], v[8:9], 0, 4
	s_or_b64 s[6:7], vcc, s[6:7]
	v_lshl_add_u64 v[10:11], v[10:11], 0, 4
	s_waitcnt vmcnt(0)
	v_lshlrev_b32_e32 v13, 16, v13
	v_fmac_f32_e32 v3, v14, v13
	s_andn2_b64 exec, exec, s[6:7]
	s_cbranch_execz .LBB94_15
.LBB94_13:                              ; =>This Inner Loop Header: Depth=1
	global_load_dword v13, v[8:9], off
	s_and_b64 vcc, exec, s[0:1]
	s_cbranch_vccz .LBB94_11
; %bb.14:                               ;   in Loop: Header=BB94_13 Depth=1
	v_mov_b32_e32 v14, 1.0
	s_branch .LBB94_12
.LBB94_15:
	s_or_b64 exec, exec, s[6:7]
.LBB94_16:
	s_or_b64 exec, exec, s[2:3]
	v_mul_lo_u32 v2, v5, s12
	v_mul_lo_u32 v8, v4, s13
	v_mad_u64_u32 v[4:5], s[0:1], v4, s12, 0
	v_mov_b32_e32 v6, s18
	v_mov_b32_e32 v7, s19
	v_add3_u32 v5, v5, v8, v2
	v_lshl_add_u64 v[4:5], v[4:5], 2, v[6:7]
	v_lshl_add_u64 v[0:1], v[0:1], 2, v[4:5]
	global_store_dword v[0:1], v3, off
.LBB94_17:
	s_endpgm
	.section	.rodata,"a",@progbits
	.p2align	6, 0x0
	.amdhsa_kernel _ZN2at6native12_GLOBAL__N_119compute_grad_weightIN3c108BFloat16EiEEvPKT0_PKT_S7_llS7_PKlPNS_14AccumulateTypeIS8_Lb1EE4typeEl
		.amdhsa_group_segment_fixed_size 0
		.amdhsa_private_segment_fixed_size 0
		.amdhsa_kernarg_size 328
		.amdhsa_user_sgpr_count 2
		.amdhsa_user_sgpr_dispatch_ptr 0
		.amdhsa_user_sgpr_queue_ptr 0
		.amdhsa_user_sgpr_kernarg_segment_ptr 1
		.amdhsa_user_sgpr_dispatch_id 0
		.amdhsa_user_sgpr_kernarg_preload_length 0
		.amdhsa_user_sgpr_kernarg_preload_offset 0
		.amdhsa_user_sgpr_private_segment_size 0
		.amdhsa_uses_dynamic_stack 0
		.amdhsa_enable_private_segment 0
		.amdhsa_system_sgpr_workgroup_id_x 1
		.amdhsa_system_sgpr_workgroup_id_y 0
		.amdhsa_system_sgpr_workgroup_id_z 0
		.amdhsa_system_sgpr_workgroup_info 0
		.amdhsa_system_vgpr_workitem_id 0
		.amdhsa_next_free_vgpr 20
		.amdhsa_next_free_sgpr 26
		.amdhsa_accum_offset 20
		.amdhsa_reserve_vcc 1
		.amdhsa_float_round_mode_32 0
		.amdhsa_float_round_mode_16_64 0
		.amdhsa_float_denorm_mode_32 3
		.amdhsa_float_denorm_mode_16_64 3
		.amdhsa_dx10_clamp 1
		.amdhsa_ieee_mode 1
		.amdhsa_fp16_overflow 0
		.amdhsa_tg_split 0
		.amdhsa_exception_fp_ieee_invalid_op 0
		.amdhsa_exception_fp_denorm_src 0
		.amdhsa_exception_fp_ieee_div_zero 0
		.amdhsa_exception_fp_ieee_overflow 0
		.amdhsa_exception_fp_ieee_underflow 0
		.amdhsa_exception_fp_ieee_inexact 0
		.amdhsa_exception_int_div_zero 0
	.end_amdhsa_kernel
	.section	.text._ZN2at6native12_GLOBAL__N_119compute_grad_weightIN3c108BFloat16EiEEvPKT0_PKT_S7_llS7_PKlPNS_14AccumulateTypeIS8_Lb1EE4typeEl,"axG",@progbits,_ZN2at6native12_GLOBAL__N_119compute_grad_weightIN3c108BFloat16EiEEvPKT0_PKT_S7_llS7_PKlPNS_14AccumulateTypeIS8_Lb1EE4typeEl,comdat
.Lfunc_end94:
	.size	_ZN2at6native12_GLOBAL__N_119compute_grad_weightIN3c108BFloat16EiEEvPKT0_PKT_S7_llS7_PKlPNS_14AccumulateTypeIS8_Lb1EE4typeEl, .Lfunc_end94-_ZN2at6native12_GLOBAL__N_119compute_grad_weightIN3c108BFloat16EiEEvPKT0_PKT_S7_llS7_PKlPNS_14AccumulateTypeIS8_Lb1EE4typeEl
                                        ; -- End function
	.section	.AMDGPU.csdata,"",@progbits
; Kernel info:
; codeLenInByte = 1480
; NumSgprs: 32
; NumVgprs: 20
; NumAgprs: 0
; TotalNumVgprs: 20
; ScratchSize: 0
; MemoryBound: 0
; FloatMode: 240
; IeeeMode: 1
; LDSByteSize: 0 bytes/workgroup (compile time only)
; SGPRBlocks: 3
; VGPRBlocks: 2
; NumSGPRsForWavesPerEU: 32
; NumVGPRsForWavesPerEU: 20
; AccumOffset: 20
; Occupancy: 8
; WaveLimiterHint : 1
; COMPUTE_PGM_RSRC2:SCRATCH_EN: 0
; COMPUTE_PGM_RSRC2:USER_SGPR: 2
; COMPUTE_PGM_RSRC2:TRAP_HANDLER: 0
; COMPUTE_PGM_RSRC2:TGID_X_EN: 1
; COMPUTE_PGM_RSRC2:TGID_Y_EN: 0
; COMPUTE_PGM_RSRC2:TGID_Z_EN: 0
; COMPUTE_PGM_RSRC2:TIDIG_COMP_CNT: 0
; COMPUTE_PGM_RSRC3_GFX90A:ACCUM_OFFSET: 4
; COMPUTE_PGM_RSRC3_GFX90A:TG_SPLIT: 0
	.section	.text._ZN2at6native12_GLOBAL__N_115sum_and_scatterIN3c108BFloat16EiEEvPKT0_PT_lS7_PKlPKNS_14AccumulateTypeIS8_Lb1EE4typeES7_SB_ll,"axG",@progbits,_ZN2at6native12_GLOBAL__N_115sum_and_scatterIN3c108BFloat16EiEEvPKT0_PT_lS7_PKlPKNS_14AccumulateTypeIS8_Lb1EE4typeES7_SB_ll,comdat
	.globl	_ZN2at6native12_GLOBAL__N_115sum_and_scatterIN3c108BFloat16EiEEvPKT0_PT_lS7_PKlPKNS_14AccumulateTypeIS8_Lb1EE4typeES7_SB_ll ; -- Begin function _ZN2at6native12_GLOBAL__N_115sum_and_scatterIN3c108BFloat16EiEEvPKT0_PT_lS7_PKlPKNS_14AccumulateTypeIS8_Lb1EE4typeES7_SB_ll
	.p2align	8
	.type	_ZN2at6native12_GLOBAL__N_115sum_and_scatterIN3c108BFloat16EiEEvPKT0_PT_lS7_PKlPKNS_14AccumulateTypeIS8_Lb1EE4typeES7_SB_ll,@function
_ZN2at6native12_GLOBAL__N_115sum_and_scatterIN3c108BFloat16EiEEvPKT0_PT_lS7_PKlPKNS_14AccumulateTypeIS8_Lb1EE4typeES7_SB_ll: ; @_ZN2at6native12_GLOBAL__N_115sum_and_scatterIN3c108BFloat16EiEEvPKT0_PT_lS7_PKlPKNS_14AccumulateTypeIS8_Lb1EE4typeES7_SB_ll
; %bb.0:
	s_load_dword s3, s[0:1], 0x5c
	s_load_dwordx4 s[20:23], s[0:1], 0x40
	s_load_dwordx16 s[4:19], s[0:1], 0x0
	v_mov_b32_e32 v1, 0
	v_mov_b32_e32 v2, s2
	s_waitcnt lgkmcnt(0)
	s_and_b32 s0, s3, 0xffff
	v_mad_u64_u32 v[2:3], s[0:1], s0, v2, v[0:1]
	v_or_b32_e32 v5, s23, v3
	v_mov_b32_e32 v4, v1
	v_cmp_ne_u64_e32 vcc, 0, v[4:5]
                                        ; implicit-def: $vgpr4_vgpr5
	s_and_saveexec_b64 s[0:1], vcc
	s_xor_b64 s[2:3], exec, s[0:1]
	s_cbranch_execz .LBB95_2
; %bb.1:
	s_ashr_i32 s24, s23, 31
	s_add_u32 s0, s22, s24
	s_mov_b32 s25, s24
	s_addc_u32 s1, s23, s24
	s_xor_b64 s[26:27], s[0:1], s[24:25]
	v_cvt_f32_u32_e32 v0, s26
	v_cvt_f32_u32_e32 v4, s27
	s_sub_u32 s0, 0, s26
	s_subb_u32 s1, 0, s27
	v_fmamk_f32 v0, v4, 0x4f800000, v0
	v_rcp_f32_e32 v0, v0
	s_nop 0
	v_mul_f32_e32 v0, 0x5f7ffffc, v0
	v_mul_f32_e32 v4, 0x2f800000, v0
	v_trunc_f32_e32 v4, v4
	v_fmamk_f32 v0, v4, 0xcf800000, v0
	v_cvt_u32_f32_e32 v6, v4
	v_cvt_u32_f32_e32 v7, v0
	v_mul_lo_u32 v0, s0, v6
	v_mul_hi_u32 v5, s0, v7
	v_mul_lo_u32 v4, s1, v7
	v_add_u32_e32 v0, v5, v0
	v_mul_lo_u32 v8, s0, v7
	v_add_u32_e32 v9, v0, v4
	v_mul_hi_u32 v5, v7, v9
	v_mul_lo_u32 v4, v7, v9
	v_mul_hi_u32 v0, v7, v8
	v_lshl_add_u64 v[4:5], v[0:1], 0, v[4:5]
	v_mul_hi_u32 v0, v6, v8
	v_mul_lo_u32 v8, v6, v8
	v_add_co_u32_e32 v4, vcc, v4, v8
	v_mul_hi_u32 v10, v6, v9
	s_nop 0
	v_addc_co_u32_e32 v0, vcc, v5, v0, vcc
	v_mul_lo_u32 v4, v6, v9
	s_nop 0
	v_addc_co_u32_e32 v5, vcc, 0, v10, vcc
	v_lshl_add_u64 v[4:5], v[0:1], 0, v[4:5]
	v_add_co_u32_e32 v7, vcc, v7, v4
	v_mul_hi_u32 v4, s0, v7
	s_nop 0
	v_addc_co_u32_e32 v6, vcc, v6, v5, vcc
	v_mul_lo_u32 v0, s0, v6
	v_add_u32_e32 v0, v4, v0
	v_mul_lo_u32 v4, s1, v7
	v_add_u32_e32 v8, v0, v4
	v_mul_lo_u32 v0, s0, v7
	v_mul_hi_u32 v10, v6, v0
	v_mul_lo_u32 v11, v6, v0
	v_mul_hi_u32 v5, v7, v8
	;; [unrolled: 2-line block ×3, first 2 shown]
	v_lshl_add_u64 v[4:5], v[0:1], 0, v[4:5]
	v_add_co_u32_e32 v0, vcc, v4, v11
	v_mul_hi_u32 v9, v6, v8
	s_nop 0
	v_addc_co_u32_e32 v0, vcc, v5, v10, vcc
	v_mul_lo_u32 v4, v6, v8
	s_nop 0
	v_addc_co_u32_e32 v5, vcc, 0, v9, vcc
	v_lshl_add_u64 v[4:5], v[0:1], 0, v[4:5]
	v_add_co_u32_e32 v10, vcc, v7, v4
	v_ashrrev_i32_e32 v4, 31, v3
	s_nop 0
	v_addc_co_u32_e32 v8, vcc, v6, v5, vcc
	v_mov_b32_e32 v5, v4
	v_lshl_add_u64 v[6:7], v[2:3], 0, v[4:5]
	v_xor_b32_e32 v12, v6, v4
	v_xor_b32_e32 v5, v7, v4
	v_mad_u64_u32 v[6:7], s[0:1], v12, v8, 0
	v_mul_hi_u32 v0, v12, v10
	v_lshl_add_u64 v[6:7], v[0:1], 0, v[6:7]
	v_mad_u64_u32 v[10:11], s[0:1], v5, v10, 0
	v_add_co_u32_e32 v0, vcc, v6, v10
	v_mad_u64_u32 v[8:9], s[0:1], v5, v8, 0
	s_nop 0
	v_addc_co_u32_e32 v0, vcc, v7, v11, vcc
	s_nop 1
	v_addc_co_u32_e32 v9, vcc, 0, v9, vcc
	v_lshl_add_u64 v[0:1], v[0:1], 0, v[8:9]
	v_mul_lo_u32 v8, s27, v0
	v_mul_lo_u32 v9, s26, v1
	v_mad_u64_u32 v[6:7], s[0:1], s26, v0, 0
	v_add3_u32 v10, v7, v9, v8
	v_sub_u32_e32 v7, v5, v10
	v_mov_b32_e32 v8, s27
	v_sub_co_u32_e32 v11, vcc, v12, v6
	s_nop 1
	v_subb_co_u32_e64 v6, s[0:1], v7, v8, vcc
	v_subrev_co_u32_e64 v7, s[0:1], s26, v11
	v_subb_co_u32_e32 v5, vcc, v5, v10, vcc
	s_nop 0
	v_subbrev_co_u32_e64 v6, s[0:1], 0, v6, s[0:1]
	v_cmp_le_u32_e64 s[0:1], s27, v6
	v_cmp_le_u32_e32 vcc, s27, v5
	s_nop 0
	v_cndmask_b32_e64 v8, 0, -1, s[0:1]
	v_cmp_le_u32_e64 s[0:1], s26, v7
	s_nop 1
	v_cndmask_b32_e64 v7, 0, -1, s[0:1]
	v_cmp_eq_u32_e64 s[0:1], s27, v6
	s_nop 1
	v_cndmask_b32_e64 v12, v8, v7, s[0:1]
	v_lshl_add_u64 v[6:7], v[0:1], 0, 2
	v_lshl_add_u64 v[8:9], v[0:1], 0, 1
	v_cmp_ne_u32_e64 s[0:1], 0, v12
	s_nop 1
	v_cndmask_b32_e64 v7, v9, v7, s[0:1]
	v_cndmask_b32_e64 v9, 0, -1, vcc
	v_cmp_le_u32_e32 vcc, s26, v11
	s_nop 1
	v_cndmask_b32_e64 v10, 0, -1, vcc
	v_cmp_eq_u32_e32 vcc, s27, v5
	s_nop 1
	v_cndmask_b32_e32 v5, v9, v10, vcc
	v_cmp_ne_u32_e32 vcc, 0, v5
	v_cndmask_b32_e64 v5, v8, v6, s[0:1]
	s_nop 0
	v_cndmask_b32_e32 v0, v0, v5, vcc
	v_xor_b32_e32 v5, s24, v4
	v_cndmask_b32_e32 v1, v1, v7, vcc
	v_xor_b32_e32 v0, v0, v5
	v_xor_b32_e32 v1, v1, v5
	v_sub_co_u32_e32 v4, vcc, v0, v5
	s_nop 1
	v_subb_co_u32_e32 v5, vcc, v1, v5, vcc
.LBB95_2:
	s_or_saveexec_b64 s[0:1], s[2:3]
	s_load_dwordx2 s[2:3], s[12:13], 0x0
	s_xor_b64 exec, exec, s[0:1]
	s_cbranch_execz .LBB95_4
; %bb.3:
	v_cvt_f32_u32_e32 v0, s22
	s_sub_i32 s12, 0, s22
	v_rcp_iflag_f32_e32 v0, v0
	s_nop 0
	v_mul_f32_e32 v0, 0x4f7ffffe, v0
	v_cvt_u32_f32_e32 v0, v0
	v_mul_lo_u32 v1, s12, v0
	v_mul_hi_u32 v1, v0, v1
	v_add_u32_e32 v0, v0, v1
	v_mul_hi_u32 v0, v2, v0
	v_mul_lo_u32 v1, v0, s22
	v_sub_u32_e32 v1, v2, v1
	v_add_u32_e32 v4, 1, v0
	v_subrev_u32_e32 v5, s22, v1
	v_cmp_le_u32_e32 vcc, s22, v1
	s_nop 1
	v_cndmask_b32_e32 v1, v1, v5, vcc
	v_cndmask_b32_e32 v0, v0, v4, vcc
	v_add_u32_e32 v4, 1, v0
	v_cmp_le_u32_e32 vcc, s22, v1
	v_mov_b32_e32 v5, 0
	s_nop 0
	v_cndmask_b32_e32 v4, v0, v4, vcc
.LBB95_4:
	s_or_b64 exec, exec, s[0:1]
	v_mul_lo_u32 v0, v5, s22
	v_mul_lo_u32 v1, v4, s23
	v_mad_u64_u32 v[6:7], s[0:1], v4, s22, 0
	v_add3_u32 v7, v7, v1, v0
	v_sub_co_u32_e32 v0, vcc, v2, v6
	s_waitcnt lgkmcnt(0)
	v_cmp_gt_i64_e64 s[0:1], s[2:3], v[4:5]
	v_subb_co_u32_e32 v1, vcc, v3, v7, vcc
	v_cmp_gt_i64_e32 vcc, s[8:9], v[0:1]
	s_and_b64 s[0:1], vcc, s[0:1]
	s_and_saveexec_b64 s[12:13], s[0:1]
	s_cbranch_execz .LBB95_15
; %bb.5:
	v_mov_b32_e32 v8, s16
	v_mov_b32_e32 v9, s17
	v_lshl_add_u64 v[8:9], v[4:5], 2, v[8:9]
	global_load_dword v10, v[8:9], off
	s_add_u32 s0, s2, -1
	s_addc_u32 s1, s3, -1
	v_cmp_ne_u64_e32 vcc, s[0:1], v[4:5]
                                        ; implicit-def: $vgpr11
	s_and_saveexec_b64 s[0:1], vcc
	s_xor_b64 s[0:1], exec, s[0:1]
	s_cbranch_execz .LBB95_7
; %bb.6:
	global_load_dword v11, v[8:9], off offset:4
.LBB95_7:
	s_andn2_saveexec_b64 s[0:1], s[0:1]
	s_cbranch_execz .LBB95_9
; %bb.8:
	s_load_dwordx2 s[2:3], s[18:19], 0x0
	s_waitcnt vmcnt(0) lgkmcnt(0)
	v_mov_b32_e32 v11, s2
.LBB95_9:
	s_or_b64 exec, exec, s[0:1]
	s_waitcnt vmcnt(0)
	v_cmp_lt_i32_e32 vcc, v10, v11
	v_mov_b32_e32 v8, 0
	s_and_saveexec_b64 s[0:1], vcc
	s_cbranch_execz .LBB95_13
; %bb.10:
	v_ashrrev_i32_e32 v8, 31, v10
	v_mul_lo_u32 v12, s9, v10
	v_mul_lo_u32 v13, s8, v8
	v_mad_u64_u32 v[8:9], s[2:3], s8, v10, 0
	v_add3_u32 v9, v9, v13, v12
	v_lshlrev_b64 v[2:3], 2, v[2:3]
	v_lshl_add_u64 v[2:3], v[8:9], 2, v[2:3]
	v_lshlrev_b64 v[6:7], 2, v[6:7]
	v_sub_co_u32_e32 v2, vcc, v2, v6
	s_lshl_b64 s[12:13], s[8:9], 2
	s_nop 0
	v_subb_co_u32_e32 v3, vcc, v3, v7, vcc
	v_lshl_add_u64 v[2:3], s[14:15], 0, v[2:3]
	s_mov_b64 s[2:3], 0
	v_mov_b32_e32 v8, 0
.LBB95_11:                              ; =>This Inner Loop Header: Depth=1
	global_load_dword v6, v[2:3], off
	v_add_u32_e32 v10, 1, v10
	v_cmp_ge_i32_e32 vcc, v10, v11
	v_lshl_add_u64 v[2:3], v[2:3], 0, s[12:13]
	s_or_b64 s[2:3], vcc, s[2:3]
	s_waitcnt vmcnt(0)
	v_add_f32_e32 v8, v8, v6
	s_andn2_b64 exec, exec, s[2:3]
	s_cbranch_execnz .LBB95_11
; %bb.12:
	s_or_b64 exec, exec, s[2:3]
.LBB95_13:
	s_or_b64 exec, exec, s[0:1]
	v_mov_b32_e32 v2, s10
	v_mov_b32_e32 v3, s11
	v_lshl_add_u64 v[2:3], v[4:5], 2, v[2:3]
	global_load_dword v2, v[2:3], off
	v_mov_b32_e32 v4, s4
	v_mov_b32_e32 v5, s5
	s_waitcnt vmcnt(0)
	v_ashrrev_i32_e32 v3, 31, v2
	v_lshl_add_u64 v[2:3], v[2:3], 2, v[4:5]
	global_load_dword v2, v[2:3], off
	s_waitcnt vmcnt(0)
	v_ashrrev_i32_e32 v3, 31, v2
	v_cmp_ne_u64_e32 vcc, s[20:21], v[2:3]
	s_and_b64 exec, exec, vcc
	s_cbranch_execz .LBB95_15
; %bb.14:
	v_bfe_u32 v6, v8, 16, 1
	s_movk_i32 s0, 0x7fff
	v_add3_u32 v6, v8, v6, s0
	v_lshrrev_b32_e32 v6, 16, v6
	v_mov_b32_e32 v7, 0x7fc0
	v_cmp_o_f32_e32 vcc, v8, v8
	v_mul_lo_u32 v8, v2, s9
	v_mov_b32_e32 v4, s6
	v_cndmask_b32_e32 v6, v7, v6, vcc
	v_mul_lo_u32 v7, v3, s8
	v_mad_u64_u32 v[2:3], s[0:1], v2, s8, 0
	v_mov_b32_e32 v5, s7
	v_add3_u32 v3, v3, v8, v7
	v_lshl_add_u64 v[2:3], v[2:3], 1, v[4:5]
	v_lshl_add_u64 v[0:1], v[0:1], 1, v[2:3]
	global_store_short v[0:1], v6, off
.LBB95_15:
	s_endpgm
	.section	.rodata,"a",@progbits
	.p2align	6, 0x0
	.amdhsa_kernel _ZN2at6native12_GLOBAL__N_115sum_and_scatterIN3c108BFloat16EiEEvPKT0_PT_lS7_PKlPKNS_14AccumulateTypeIS8_Lb1EE4typeES7_SB_ll
		.amdhsa_group_segment_fixed_size 0
		.amdhsa_private_segment_fixed_size 0
		.amdhsa_kernarg_size 336
		.amdhsa_user_sgpr_count 2
		.amdhsa_user_sgpr_dispatch_ptr 0
		.amdhsa_user_sgpr_queue_ptr 0
		.amdhsa_user_sgpr_kernarg_segment_ptr 1
		.amdhsa_user_sgpr_dispatch_id 0
		.amdhsa_user_sgpr_kernarg_preload_length 0
		.amdhsa_user_sgpr_kernarg_preload_offset 0
		.amdhsa_user_sgpr_private_segment_size 0
		.amdhsa_uses_dynamic_stack 0
		.amdhsa_enable_private_segment 0
		.amdhsa_system_sgpr_workgroup_id_x 1
		.amdhsa_system_sgpr_workgroup_id_y 0
		.amdhsa_system_sgpr_workgroup_id_z 0
		.amdhsa_system_sgpr_workgroup_info 0
		.amdhsa_system_vgpr_workitem_id 0
		.amdhsa_next_free_vgpr 14
		.amdhsa_next_free_sgpr 28
		.amdhsa_accum_offset 16
		.amdhsa_reserve_vcc 1
		.amdhsa_float_round_mode_32 0
		.amdhsa_float_round_mode_16_64 0
		.amdhsa_float_denorm_mode_32 3
		.amdhsa_float_denorm_mode_16_64 3
		.amdhsa_dx10_clamp 1
		.amdhsa_ieee_mode 1
		.amdhsa_fp16_overflow 0
		.amdhsa_tg_split 0
		.amdhsa_exception_fp_ieee_invalid_op 0
		.amdhsa_exception_fp_denorm_src 0
		.amdhsa_exception_fp_ieee_div_zero 0
		.amdhsa_exception_fp_ieee_overflow 0
		.amdhsa_exception_fp_ieee_underflow 0
		.amdhsa_exception_fp_ieee_inexact 0
		.amdhsa_exception_int_div_zero 0
	.end_amdhsa_kernel
	.section	.text._ZN2at6native12_GLOBAL__N_115sum_and_scatterIN3c108BFloat16EiEEvPKT0_PT_lS7_PKlPKNS_14AccumulateTypeIS8_Lb1EE4typeES7_SB_ll,"axG",@progbits,_ZN2at6native12_GLOBAL__N_115sum_and_scatterIN3c108BFloat16EiEEvPKT0_PT_lS7_PKlPKNS_14AccumulateTypeIS8_Lb1EE4typeES7_SB_ll,comdat
.Lfunc_end95:
	.size	_ZN2at6native12_GLOBAL__N_115sum_and_scatterIN3c108BFloat16EiEEvPKT0_PT_lS7_PKlPKNS_14AccumulateTypeIS8_Lb1EE4typeES7_SB_ll, .Lfunc_end95-_ZN2at6native12_GLOBAL__N_115sum_and_scatterIN3c108BFloat16EiEEvPKT0_PT_lS7_PKlPKNS_14AccumulateTypeIS8_Lb1EE4typeES7_SB_ll
                                        ; -- End function
	.section	.AMDGPU.csdata,"",@progbits
; Kernel info:
; codeLenInByte = 1444
; NumSgprs: 34
; NumVgprs: 14
; NumAgprs: 0
; TotalNumVgprs: 14
; ScratchSize: 0
; MemoryBound: 0
; FloatMode: 240
; IeeeMode: 1
; LDSByteSize: 0 bytes/workgroup (compile time only)
; SGPRBlocks: 4
; VGPRBlocks: 1
; NumSGPRsForWavesPerEU: 34
; NumVGPRsForWavesPerEU: 14
; AccumOffset: 16
; Occupancy: 8
; WaveLimiterHint : 1
; COMPUTE_PGM_RSRC2:SCRATCH_EN: 0
; COMPUTE_PGM_RSRC2:USER_SGPR: 2
; COMPUTE_PGM_RSRC2:TRAP_HANDLER: 0
; COMPUTE_PGM_RSRC2:TGID_X_EN: 1
; COMPUTE_PGM_RSRC2:TGID_Y_EN: 0
; COMPUTE_PGM_RSRC2:TGID_Z_EN: 0
; COMPUTE_PGM_RSRC2:TIDIG_COMP_CNT: 0
; COMPUTE_PGM_RSRC3_GFX90A:ACCUM_OFFSET: 3
; COMPUTE_PGM_RSRC3_GFX90A:TG_SPLIT: 0
	.section	.text._ZN2at6native12_GLOBAL__N_124krn_partials_per_segmentIlEEvPT_PKS3_PKll,"axG",@progbits,_ZN2at6native12_GLOBAL__N_124krn_partials_per_segmentIlEEvPT_PKS3_PKll,comdat
	.globl	_ZN2at6native12_GLOBAL__N_124krn_partials_per_segmentIlEEvPT_PKS3_PKll ; -- Begin function _ZN2at6native12_GLOBAL__N_124krn_partials_per_segmentIlEEvPT_PKS3_PKll
	.p2align	8
	.type	_ZN2at6native12_GLOBAL__N_124krn_partials_per_segmentIlEEvPT_PKS3_PKll,@function
_ZN2at6native12_GLOBAL__N_124krn_partials_per_segmentIlEEvPT_PKS3_PKll: ; @_ZN2at6native12_GLOBAL__N_124krn_partials_per_segmentIlEEvPT_PKS3_PKll
; %bb.0:
	s_load_dwordx8 s[4:11], s[0:1], 0x0
	s_load_dword s3, s[0:1], 0x2c
	s_waitcnt lgkmcnt(0)
	s_and_b32 s3, s3, 0xffff
	s_load_dwordx2 s[0:1], s[8:9], 0x0
	s_mul_i32 s2, s2, s3
	v_add_u32_e32 v0, s2, v0
	v_ashrrev_i32_e32 v1, 31, v0
	s_waitcnt lgkmcnt(0)
	v_cmp_gt_i64_e32 vcc, s[0:1], v[0:1]
	s_and_saveexec_b64 s[2:3], vcc
	s_cbranch_execz .LBB96_4
; %bb.1:
	v_mov_b32_e32 v2, s6
	v_mov_b32_e32 v3, s7
	v_lshl_add_u64 v[6:7], v[0:1], 3, v[2:3]
	global_load_dwordx2 v[2:3], v[6:7], off
	s_add_u32 s0, s0, -1
	s_addc_u32 s1, s1, -1
	v_cmp_ne_u64_e32 vcc, s[0:1], v[0:1]
	v_mov_b64_e32 v[4:5], s[10:11]
	s_and_saveexec_b64 s[0:1], vcc
	s_cbranch_execz .LBB96_3
; %bb.2:
	global_load_dwordx2 v[4:5], v[6:7], off offset:8
.LBB96_3:
	s_or_b64 exec, exec, s[0:1]
	s_add_u32 s0, 0, 0x99986000
	s_addc_u32 s1, 0, 0x59
	s_add_i32 s1, s1, 0x19999940
	v_mov_b32_e32 v7, s5
	s_mul_hi_u32 s5, s0, -10
	s_mul_i32 s6, s1, -10
	s_add_i32 s5, s5, s6
	s_mul_i32 s2, s0, -10
	s_sub_i32 s5, s5, s0
	v_mov_b32_e32 v6, s4
	s_mul_hi_u32 s3, s1, s2
	s_mul_i32 s4, s1, s2
	s_mul_i32 s7, s0, s5
	s_mul_hi_u32 s2, s0, s2
	s_mul_hi_u32 s6, s0, s5
	s_add_u32 s2, s2, s7
	s_addc_u32 s6, 0, s6
	s_add_u32 s2, s2, s4
	s_mul_hi_u32 s7, s1, s5
	s_addc_u32 s2, s6, s3
	s_waitcnt vmcnt(0)
	v_sub_co_u32_e32 v2, vcc, v4, v2
	s_addc_u32 s3, s7, 0
	s_mul_i32 s4, s1, s5
	v_subb_co_u32_e32 v3, vcc, v5, v3, vcc
	s_add_u32 s2, s2, s4
	v_lshl_add_u64 v[2:3], v[2:3], 0, 9
	v_mov_b32_e32 v4, s2
	v_add_co_u32_e32 v12, vcc, s0, v4
	v_ashrrev_i32_e32 v4, 31, v3
	s_addc_u32 s3, 0, s3
	v_mov_b32_e32 v5, v4
	s_cmp_lg_u64 vcc, 0
	v_lshl_add_u64 v[2:3], v[2:3], 0, v[4:5]
	s_addc_u32 s2, s1, s3
	v_xor_b32_e32 v14, v2, v4
	v_xor_b32_e32 v5, v3, v4
	v_mad_u64_u32 v[2:3], s[0:1], v14, s2, 0
	v_mul_hi_u32 v8, v14, v12
	v_mov_b32_e32 v9, 0
	v_lshl_add_u64 v[2:3], v[8:9], 0, v[2:3]
	v_mad_u64_u32 v[12:13], s[0:1], v5, v12, 0
	v_add_co_u32_e32 v2, vcc, v2, v12
	v_mad_u64_u32 v[10:11], s[0:1], v5, s2, 0
	s_nop 0
	v_addc_co_u32_e32 v8, vcc, v3, v13, vcc
	v_lshl_add_u64 v[0:1], v[0:1], 3, v[6:7]
	s_nop 0
	v_addc_co_u32_e32 v11, vcc, 0, v11, vcc
	v_lshl_add_u64 v[2:3], v[8:9], 0, v[10:11]
	v_mad_u64_u32 v[8:9], s[0:1], v2, 10, 0
	v_mov_b32_e32 v10, v9
	v_mad_u64_u32 v[10:11], s[0:1], v3, 10, v[10:11]
	v_sub_co_u32_e32 v12, vcc, v14, v8
	v_cmp_lt_u32_e64 s[0:1], 9, v12
	s_nop 0
	v_subb_co_u32_e32 v5, vcc, v5, v10, vcc
	v_subrev_co_u32_e32 v8, vcc, 10, v12
	v_lshl_add_u64 v[10:11], v[2:3], 0, 1
	s_nop 0
	v_subbrev_co_u32_e32 v9, vcc, 0, v5, vcc
	v_cmp_lt_u32_e32 vcc, 9, v8
	s_nop 1
	v_cndmask_b32_e64 v8, 0, -1, vcc
	v_cmp_eq_u32_e32 vcc, 0, v9
	s_nop 1
	v_cndmask_b32_e32 v13, -1, v8, vcc
	v_lshl_add_u64 v[8:9], v[2:3], 0, 2
	v_cmp_ne_u32_e32 vcc, 0, v13
	s_nop 1
	v_cndmask_b32_e32 v9, v11, v9, vcc
	v_cndmask_b32_e64 v11, 0, -1, s[0:1]
	v_cmp_eq_u32_e64 s[0:1], 0, v5
	s_nop 1
	v_cndmask_b32_e64 v5, -1, v11, s[0:1]
	v_cmp_ne_u32_e64 s[0:1], 0, v5
	v_cndmask_b32_e32 v5, v10, v8, vcc
	s_nop 0
	v_cndmask_b32_e64 v2, v2, v5, s[0:1]
	v_cndmask_b32_e64 v3, v3, v9, s[0:1]
	v_xor_b32_e32 v2, v2, v4
	v_xor_b32_e32 v3, v3, v4
	v_sub_co_u32_e32 v2, vcc, v2, v4
	s_nop 1
	v_subb_co_u32_e32 v3, vcc, v3, v4, vcc
	global_store_dwordx2 v[0:1], v[2:3], off
.LBB96_4:
	s_endpgm
	.section	.rodata,"a",@progbits
	.p2align	6, 0x0
	.amdhsa_kernel _ZN2at6native12_GLOBAL__N_124krn_partials_per_segmentIlEEvPT_PKS3_PKll
		.amdhsa_group_segment_fixed_size 0
		.amdhsa_private_segment_fixed_size 0
		.amdhsa_kernarg_size 288
		.amdhsa_user_sgpr_count 2
		.amdhsa_user_sgpr_dispatch_ptr 0
		.amdhsa_user_sgpr_queue_ptr 0
		.amdhsa_user_sgpr_kernarg_segment_ptr 1
		.amdhsa_user_sgpr_dispatch_id 0
		.amdhsa_user_sgpr_kernarg_preload_length 0
		.amdhsa_user_sgpr_kernarg_preload_offset 0
		.amdhsa_user_sgpr_private_segment_size 0
		.amdhsa_uses_dynamic_stack 0
		.amdhsa_enable_private_segment 0
		.amdhsa_system_sgpr_workgroup_id_x 1
		.amdhsa_system_sgpr_workgroup_id_y 0
		.amdhsa_system_sgpr_workgroup_id_z 0
		.amdhsa_system_sgpr_workgroup_info 0
		.amdhsa_system_vgpr_workitem_id 0
		.amdhsa_next_free_vgpr 15
		.amdhsa_next_free_sgpr 12
		.amdhsa_accum_offset 16
		.amdhsa_reserve_vcc 1
		.amdhsa_float_round_mode_32 0
		.amdhsa_float_round_mode_16_64 0
		.amdhsa_float_denorm_mode_32 3
		.amdhsa_float_denorm_mode_16_64 3
		.amdhsa_dx10_clamp 1
		.amdhsa_ieee_mode 1
		.amdhsa_fp16_overflow 0
		.amdhsa_tg_split 0
		.amdhsa_exception_fp_ieee_invalid_op 0
		.amdhsa_exception_fp_denorm_src 0
		.amdhsa_exception_fp_ieee_div_zero 0
		.amdhsa_exception_fp_ieee_overflow 0
		.amdhsa_exception_fp_ieee_underflow 0
		.amdhsa_exception_fp_ieee_inexact 0
		.amdhsa_exception_int_div_zero 0
	.end_amdhsa_kernel
	.section	.text._ZN2at6native12_GLOBAL__N_124krn_partials_per_segmentIlEEvPT_PKS3_PKll,"axG",@progbits,_ZN2at6native12_GLOBAL__N_124krn_partials_per_segmentIlEEvPT_PKS3_PKll,comdat
.Lfunc_end96:
	.size	_ZN2at6native12_GLOBAL__N_124krn_partials_per_segmentIlEEvPT_PKS3_PKll, .Lfunc_end96-_ZN2at6native12_GLOBAL__N_124krn_partials_per_segmentIlEEvPT_PKS3_PKll
                                        ; -- End function
	.section	.AMDGPU.csdata,"",@progbits
; Kernel info:
; codeLenInByte = 572
; NumSgprs: 18
; NumVgprs: 15
; NumAgprs: 0
; TotalNumVgprs: 15
; ScratchSize: 0
; MemoryBound: 0
; FloatMode: 240
; IeeeMode: 1
; LDSByteSize: 0 bytes/workgroup (compile time only)
; SGPRBlocks: 2
; VGPRBlocks: 1
; NumSGPRsForWavesPerEU: 18
; NumVGPRsForWavesPerEU: 15
; AccumOffset: 16
; Occupancy: 8
; WaveLimiterHint : 0
; COMPUTE_PGM_RSRC2:SCRATCH_EN: 0
; COMPUTE_PGM_RSRC2:USER_SGPR: 2
; COMPUTE_PGM_RSRC2:TRAP_HANDLER: 0
; COMPUTE_PGM_RSRC2:TGID_X_EN: 1
; COMPUTE_PGM_RSRC2:TGID_Y_EN: 0
; COMPUTE_PGM_RSRC2:TGID_Z_EN: 0
; COMPUTE_PGM_RSRC2:TIDIG_COMP_CNT: 0
; COMPUTE_PGM_RSRC3_GFX90A:ACCUM_OFFSET: 3
; COMPUTE_PGM_RSRC3_GFX90A:TG_SPLIT: 0
	.section	.text._ZN2at6native12_GLOBAL__N_131compute_num_of_partial_segmentsIlEEvPKT_S5_PKlPl,"axG",@progbits,_ZN2at6native12_GLOBAL__N_131compute_num_of_partial_segmentsIlEEvPKT_S5_PKlPl,comdat
	.globl	_ZN2at6native12_GLOBAL__N_131compute_num_of_partial_segmentsIlEEvPKT_S5_PKlPl ; -- Begin function _ZN2at6native12_GLOBAL__N_131compute_num_of_partial_segmentsIlEEvPKT_S5_PKlPl
	.p2align	8
	.type	_ZN2at6native12_GLOBAL__N_131compute_num_of_partial_segmentsIlEEvPKT_S5_PKlPl,@function
_ZN2at6native12_GLOBAL__N_131compute_num_of_partial_segmentsIlEEvPKT_S5_PKlPl: ; @_ZN2at6native12_GLOBAL__N_131compute_num_of_partial_segmentsIlEEvPKT_S5_PKlPl
; %bb.0:
	s_load_dwordx8 s[0:7], s[0:1], 0x0
	v_mov_b32_e32 v2, 0
	s_waitcnt lgkmcnt(0)
	s_load_dwordx2 s[4:5], s[4:5], 0x0
	s_waitcnt lgkmcnt(0)
	s_lshl_b64 s[4:5], s[4:5], 3
	s_add_u32 s0, s0, s4
	s_addc_u32 s1, s1, s5
	s_add_u32 s0, s0, -8
	s_addc_u32 s1, s1, -1
	s_add_u32 s2, s2, s4
	s_addc_u32 s3, s3, s5
	s_add_u32 s2, s2, -8
	s_addc_u32 s3, s3, -1
	s_load_dwordx2 s[0:1], s[0:1], 0x0
	s_nop 0
	s_load_dwordx2 s[2:3], s[2:3], 0x0
	s_waitcnt lgkmcnt(0)
	s_add_u32 s0, s2, s0
	s_addc_u32 s1, s3, s1
	v_mov_b64_e32 v[0:1], s[0:1]
	global_store_dwordx2 v2, v[0:1], s[6:7]
	s_endpgm
	.section	.rodata,"a",@progbits
	.p2align	6, 0x0
	.amdhsa_kernel _ZN2at6native12_GLOBAL__N_131compute_num_of_partial_segmentsIlEEvPKT_S5_PKlPl
		.amdhsa_group_segment_fixed_size 0
		.amdhsa_private_segment_fixed_size 0
		.amdhsa_kernarg_size 32
		.amdhsa_user_sgpr_count 2
		.amdhsa_user_sgpr_dispatch_ptr 0
		.amdhsa_user_sgpr_queue_ptr 0
		.amdhsa_user_sgpr_kernarg_segment_ptr 1
		.amdhsa_user_sgpr_dispatch_id 0
		.amdhsa_user_sgpr_kernarg_preload_length 0
		.amdhsa_user_sgpr_kernarg_preload_offset 0
		.amdhsa_user_sgpr_private_segment_size 0
		.amdhsa_uses_dynamic_stack 0
		.amdhsa_enable_private_segment 0
		.amdhsa_system_sgpr_workgroup_id_x 1
		.amdhsa_system_sgpr_workgroup_id_y 0
		.amdhsa_system_sgpr_workgroup_id_z 0
		.amdhsa_system_sgpr_workgroup_info 0
		.amdhsa_system_vgpr_workitem_id 0
		.amdhsa_next_free_vgpr 3
		.amdhsa_next_free_sgpr 8
		.amdhsa_accum_offset 4
		.amdhsa_reserve_vcc 0
		.amdhsa_float_round_mode_32 0
		.amdhsa_float_round_mode_16_64 0
		.amdhsa_float_denorm_mode_32 3
		.amdhsa_float_denorm_mode_16_64 3
		.amdhsa_dx10_clamp 1
		.amdhsa_ieee_mode 1
		.amdhsa_fp16_overflow 0
		.amdhsa_tg_split 0
		.amdhsa_exception_fp_ieee_invalid_op 0
		.amdhsa_exception_fp_denorm_src 0
		.amdhsa_exception_fp_ieee_div_zero 0
		.amdhsa_exception_fp_ieee_overflow 0
		.amdhsa_exception_fp_ieee_underflow 0
		.amdhsa_exception_fp_ieee_inexact 0
		.amdhsa_exception_int_div_zero 0
	.end_amdhsa_kernel
	.section	.text._ZN2at6native12_GLOBAL__N_131compute_num_of_partial_segmentsIlEEvPKT_S5_PKlPl,"axG",@progbits,_ZN2at6native12_GLOBAL__N_131compute_num_of_partial_segmentsIlEEvPKT_S5_PKlPl,comdat
.Lfunc_end97:
	.size	_ZN2at6native12_GLOBAL__N_131compute_num_of_partial_segmentsIlEEvPKT_S5_PKlPl, .Lfunc_end97-_ZN2at6native12_GLOBAL__N_131compute_num_of_partial_segmentsIlEEvPKT_S5_PKlPl
                                        ; -- End function
	.section	.AMDGPU.csdata,"",@progbits
; Kernel info:
; codeLenInByte = 112
; NumSgprs: 14
; NumVgprs: 3
; NumAgprs: 0
; TotalNumVgprs: 3
; ScratchSize: 0
; MemoryBound: 1
; FloatMode: 240
; IeeeMode: 1
; LDSByteSize: 0 bytes/workgroup (compile time only)
; SGPRBlocks: 1
; VGPRBlocks: 0
; NumSGPRsForWavesPerEU: 14
; NumVGPRsForWavesPerEU: 3
; AccumOffset: 4
; Occupancy: 8
; WaveLimiterHint : 1
; COMPUTE_PGM_RSRC2:SCRATCH_EN: 0
; COMPUTE_PGM_RSRC2:USER_SGPR: 2
; COMPUTE_PGM_RSRC2:TRAP_HANDLER: 0
; COMPUTE_PGM_RSRC2:TGID_X_EN: 1
; COMPUTE_PGM_RSRC2:TGID_Y_EN: 0
; COMPUTE_PGM_RSRC2:TGID_Z_EN: 0
; COMPUTE_PGM_RSRC2:TIDIG_COMP_CNT: 0
; COMPUTE_PGM_RSRC3_GFX90A:ACCUM_OFFSET: 0
; COMPUTE_PGM_RSRC3_GFX90A:TG_SPLIT: 0
	.section	.text._ZN2at6native12_GLOBAL__N_126krn_partial_segment_offsetIlEEvPT_PKS3_S6_S6_PKl,"axG",@progbits,_ZN2at6native12_GLOBAL__N_126krn_partial_segment_offsetIlEEvPT_PKS3_S6_S6_PKl,comdat
	.globl	_ZN2at6native12_GLOBAL__N_126krn_partial_segment_offsetIlEEvPT_PKS3_S6_S6_PKl ; -- Begin function _ZN2at6native12_GLOBAL__N_126krn_partial_segment_offsetIlEEvPT_PKS3_S6_S6_PKl
	.p2align	8
	.type	_ZN2at6native12_GLOBAL__N_126krn_partial_segment_offsetIlEEvPT_PKS3_S6_S6_PKl,@function
_ZN2at6native12_GLOBAL__N_126krn_partial_segment_offsetIlEEvPT_PKS3_S6_S6_PKl: ; @_ZN2at6native12_GLOBAL__N_126krn_partial_segment_offsetIlEEvPT_PKS3_S6_S6_PKl
; %bb.0:
	s_load_dwordx2 s[4:5], s[0:1], 0x20
	s_load_dword s3, s[0:1], 0x34
	s_waitcnt lgkmcnt(0)
	s_and_b32 s3, s3, 0xffff
	s_load_dwordx2 s[4:5], s[4:5], 0x0
	s_mul_i32 s2, s2, s3
	v_add_u32_e32 v2, s2, v0
	v_ashrrev_i32_e32 v3, 31, v2
	s_waitcnt lgkmcnt(0)
	v_cmp_gt_i64_e32 vcc, s[4:5], v[2:3]
	s_and_saveexec_b64 s[2:3], vcc
	s_cbranch_execz .LBB98_4
; %bb.1:
	s_load_dwordx8 s[0:7], s[0:1], 0x0
	s_waitcnt lgkmcnt(0)
	v_mov_b32_e32 v0, s2
	v_mov_b32_e32 v1, s3
	v_lshl_add_u64 v[0:1], v[2:3], 3, v[0:1]
	global_load_dwordx2 v[0:1], v[0:1], off
	s_mov_b64 s[2:3], 0
	s_waitcnt vmcnt(0)
	v_cmp_lt_i64_e32 vcc, 0, v[0:1]
	s_and_b64 exec, exec, vcc
	s_cbranch_execz .LBB98_4
; %bb.2:
	v_lshlrev_b64 v[2:3], 3, v[2:3]
	v_lshl_add_u64 v[6:7], s[4:5], 0, v[2:3]
	v_lshl_add_u64 v[4:5], s[6:7], 0, v[2:3]
	global_load_dwordx2 v[8:9], v[6:7], off
	global_load_dwordx2 v[2:3], v[4:5], off
	v_mov_b32_e32 v4, s0
	v_mov_b32_e32 v5, s1
	s_waitcnt vmcnt(1)
	v_lshl_add_u64 v[4:5], v[8:9], 3, v[4:5]
	s_waitcnt vmcnt(0)
.LBB98_3:                               ; =>This Inner Loop Header: Depth=1
	v_lshl_add_u64 v[0:1], v[0:1], 0, -1
	v_cmp_eq_u64_e32 vcc, 0, v[0:1]
	global_store_dwordx2 v[4:5], v[2:3], off
	v_lshl_add_u64 v[2:3], v[2:3], 0, 10
	s_or_b64 s[2:3], vcc, s[2:3]
	v_lshl_add_u64 v[4:5], v[4:5], 0, 8
	s_andn2_b64 exec, exec, s[2:3]
	s_cbranch_execnz .LBB98_3
.LBB98_4:
	s_endpgm
	.section	.rodata,"a",@progbits
	.p2align	6, 0x0
	.amdhsa_kernel _ZN2at6native12_GLOBAL__N_126krn_partial_segment_offsetIlEEvPT_PKS3_S6_S6_PKl
		.amdhsa_group_segment_fixed_size 0
		.amdhsa_private_segment_fixed_size 0
		.amdhsa_kernarg_size 296
		.amdhsa_user_sgpr_count 2
		.amdhsa_user_sgpr_dispatch_ptr 0
		.amdhsa_user_sgpr_queue_ptr 0
		.amdhsa_user_sgpr_kernarg_segment_ptr 1
		.amdhsa_user_sgpr_dispatch_id 0
		.amdhsa_user_sgpr_kernarg_preload_length 0
		.amdhsa_user_sgpr_kernarg_preload_offset 0
		.amdhsa_user_sgpr_private_segment_size 0
		.amdhsa_uses_dynamic_stack 0
		.amdhsa_enable_private_segment 0
		.amdhsa_system_sgpr_workgroup_id_x 1
		.amdhsa_system_sgpr_workgroup_id_y 0
		.amdhsa_system_sgpr_workgroup_id_z 0
		.amdhsa_system_sgpr_workgroup_info 0
		.amdhsa_system_vgpr_workitem_id 0
		.amdhsa_next_free_vgpr 10
		.amdhsa_next_free_sgpr 8
		.amdhsa_accum_offset 12
		.amdhsa_reserve_vcc 1
		.amdhsa_float_round_mode_32 0
		.amdhsa_float_round_mode_16_64 0
		.amdhsa_float_denorm_mode_32 3
		.amdhsa_float_denorm_mode_16_64 3
		.amdhsa_dx10_clamp 1
		.amdhsa_ieee_mode 1
		.amdhsa_fp16_overflow 0
		.amdhsa_tg_split 0
		.amdhsa_exception_fp_ieee_invalid_op 0
		.amdhsa_exception_fp_denorm_src 0
		.amdhsa_exception_fp_ieee_div_zero 0
		.amdhsa_exception_fp_ieee_overflow 0
		.amdhsa_exception_fp_ieee_underflow 0
		.amdhsa_exception_fp_ieee_inexact 0
		.amdhsa_exception_int_div_zero 0
	.end_amdhsa_kernel
	.section	.text._ZN2at6native12_GLOBAL__N_126krn_partial_segment_offsetIlEEvPT_PKS3_S6_S6_PKl,"axG",@progbits,_ZN2at6native12_GLOBAL__N_126krn_partial_segment_offsetIlEEvPT_PKS3_S6_S6_PKl,comdat
.Lfunc_end98:
	.size	_ZN2at6native12_GLOBAL__N_126krn_partial_segment_offsetIlEEvPT_PKS3_S6_S6_PKl, .Lfunc_end98-_ZN2at6native12_GLOBAL__N_126krn_partial_segment_offsetIlEEvPT_PKS3_S6_S6_PKl
                                        ; -- End function
	.section	.AMDGPU.csdata,"",@progbits
; Kernel info:
; codeLenInByte = 236
; NumSgprs: 14
; NumVgprs: 10
; NumAgprs: 0
; TotalNumVgprs: 10
; ScratchSize: 0
; MemoryBound: 0
; FloatMode: 240
; IeeeMode: 1
; LDSByteSize: 0 bytes/workgroup (compile time only)
; SGPRBlocks: 1
; VGPRBlocks: 1
; NumSGPRsForWavesPerEU: 14
; NumVGPRsForWavesPerEU: 10
; AccumOffset: 12
; Occupancy: 8
; WaveLimiterHint : 0
; COMPUTE_PGM_RSRC2:SCRATCH_EN: 0
; COMPUTE_PGM_RSRC2:USER_SGPR: 2
; COMPUTE_PGM_RSRC2:TRAP_HANDLER: 0
; COMPUTE_PGM_RSRC2:TGID_X_EN: 1
; COMPUTE_PGM_RSRC2:TGID_Y_EN: 0
; COMPUTE_PGM_RSRC2:TGID_Z_EN: 0
; COMPUTE_PGM_RSRC2:TIDIG_COMP_CNT: 0
; COMPUTE_PGM_RSRC3_GFX90A:ACCUM_OFFSET: 2
; COMPUTE_PGM_RSRC3_GFX90A:TG_SPLIT: 0
	.section	.text._ZN2at6native12_GLOBAL__N_126krn_partial_to_segment_idxIlEEvPT_PKS3_S6_PKl,"axG",@progbits,_ZN2at6native12_GLOBAL__N_126krn_partial_to_segment_idxIlEEvPT_PKS3_S6_PKl,comdat
	.globl	_ZN2at6native12_GLOBAL__N_126krn_partial_to_segment_idxIlEEvPT_PKS3_S6_PKl ; -- Begin function _ZN2at6native12_GLOBAL__N_126krn_partial_to_segment_idxIlEEvPT_PKS3_S6_PKl
	.p2align	8
	.type	_ZN2at6native12_GLOBAL__N_126krn_partial_to_segment_idxIlEEvPT_PKS3_S6_PKl,@function
_ZN2at6native12_GLOBAL__N_126krn_partial_to_segment_idxIlEEvPT_PKS3_S6_PKl: ; @_ZN2at6native12_GLOBAL__N_126krn_partial_to_segment_idxIlEEvPT_PKS3_S6_PKl
; %bb.0:
	s_load_dwordx8 s[4:11], s[0:1], 0x0
	s_load_dword s3, s[0:1], 0x2c
	s_waitcnt lgkmcnt(0)
	s_and_b32 s3, s3, 0xffff
	s_load_dwordx2 s[0:1], s[10:11], 0x0
	s_mul_i32 s2, s2, s3
	v_add_u32_e32 v0, s2, v0
	v_ashrrev_i32_e32 v1, 31, v0
	s_waitcnt lgkmcnt(0)
	v_cmp_gt_i64_e32 vcc, s[0:1], v[0:1]
	s_and_saveexec_b64 s[0:1], vcc
	s_cbranch_execz .LBB99_4
; %bb.1:
	v_mov_b32_e32 v2, s6
	v_mov_b32_e32 v3, s7
	v_lshl_add_u64 v[2:3], v[0:1], 3, v[2:3]
	global_load_dwordx2 v[2:3], v[2:3], off
	s_mov_b64 s[0:1], 0
	s_waitcnt vmcnt(0)
	v_cmp_lt_i64_e32 vcc, 0, v[2:3]
	s_and_b64 exec, exec, vcc
	s_cbranch_execz .LBB99_4
; %bb.2:
	v_mov_b32_e32 v4, s8
	v_mov_b32_e32 v5, s9
	v_lshl_add_u64 v[4:5], v[0:1], 3, v[4:5]
	global_load_dwordx2 v[4:5], v[4:5], off
	v_mov_b32_e32 v6, s4
	v_mov_b32_e32 v7, s5
	s_waitcnt vmcnt(0)
	v_lshl_add_u64 v[4:5], v[4:5], 3, v[6:7]
.LBB99_3:                               ; =>This Inner Loop Header: Depth=1
	v_lshl_add_u64 v[2:3], v[2:3], 0, -1
	v_cmp_eq_u64_e32 vcc, 0, v[2:3]
	global_store_dwordx2 v[4:5], v[0:1], off
	s_or_b64 s[0:1], vcc, s[0:1]
	v_lshl_add_u64 v[4:5], v[4:5], 0, 8
	s_andn2_b64 exec, exec, s[0:1]
	s_cbranch_execnz .LBB99_3
.LBB99_4:
	s_endpgm
	.section	.rodata,"a",@progbits
	.p2align	6, 0x0
	.amdhsa_kernel _ZN2at6native12_GLOBAL__N_126krn_partial_to_segment_idxIlEEvPT_PKS3_S6_PKl
		.amdhsa_group_segment_fixed_size 0
		.amdhsa_private_segment_fixed_size 0
		.amdhsa_kernarg_size 288
		.amdhsa_user_sgpr_count 2
		.amdhsa_user_sgpr_dispatch_ptr 0
		.amdhsa_user_sgpr_queue_ptr 0
		.amdhsa_user_sgpr_kernarg_segment_ptr 1
		.amdhsa_user_sgpr_dispatch_id 0
		.amdhsa_user_sgpr_kernarg_preload_length 0
		.amdhsa_user_sgpr_kernarg_preload_offset 0
		.amdhsa_user_sgpr_private_segment_size 0
		.amdhsa_uses_dynamic_stack 0
		.amdhsa_enable_private_segment 0
		.amdhsa_system_sgpr_workgroup_id_x 1
		.amdhsa_system_sgpr_workgroup_id_y 0
		.amdhsa_system_sgpr_workgroup_id_z 0
		.amdhsa_system_sgpr_workgroup_info 0
		.amdhsa_system_vgpr_workitem_id 0
		.amdhsa_next_free_vgpr 8
		.amdhsa_next_free_sgpr 12
		.amdhsa_accum_offset 8
		.amdhsa_reserve_vcc 1
		.amdhsa_float_round_mode_32 0
		.amdhsa_float_round_mode_16_64 0
		.amdhsa_float_denorm_mode_32 3
		.amdhsa_float_denorm_mode_16_64 3
		.amdhsa_dx10_clamp 1
		.amdhsa_ieee_mode 1
		.amdhsa_fp16_overflow 0
		.amdhsa_tg_split 0
		.amdhsa_exception_fp_ieee_invalid_op 0
		.amdhsa_exception_fp_denorm_src 0
		.amdhsa_exception_fp_ieee_div_zero 0
		.amdhsa_exception_fp_ieee_overflow 0
		.amdhsa_exception_fp_ieee_underflow 0
		.amdhsa_exception_fp_ieee_inexact 0
		.amdhsa_exception_int_div_zero 0
	.end_amdhsa_kernel
	.section	.text._ZN2at6native12_GLOBAL__N_126krn_partial_to_segment_idxIlEEvPT_PKS3_S6_PKl,"axG",@progbits,_ZN2at6native12_GLOBAL__N_126krn_partial_to_segment_idxIlEEvPT_PKS3_S6_PKl,comdat
.Lfunc_end99:
	.size	_ZN2at6native12_GLOBAL__N_126krn_partial_to_segment_idxIlEEvPT_PKS3_S6_PKl, .Lfunc_end99-_ZN2at6native12_GLOBAL__N_126krn_partial_to_segment_idxIlEEvPT_PKS3_S6_PKl
                                        ; -- End function
	.section	.AMDGPU.csdata,"",@progbits
; Kernel info:
; codeLenInByte = 196
; NumSgprs: 18
; NumVgprs: 8
; NumAgprs: 0
; TotalNumVgprs: 8
; ScratchSize: 0
; MemoryBound: 0
; FloatMode: 240
; IeeeMode: 1
; LDSByteSize: 0 bytes/workgroup (compile time only)
; SGPRBlocks: 2
; VGPRBlocks: 0
; NumSGPRsForWavesPerEU: 18
; NumVGPRsForWavesPerEU: 8
; AccumOffset: 8
; Occupancy: 8
; WaveLimiterHint : 0
; COMPUTE_PGM_RSRC2:SCRATCH_EN: 0
; COMPUTE_PGM_RSRC2:USER_SGPR: 2
; COMPUTE_PGM_RSRC2:TRAP_HANDLER: 0
; COMPUTE_PGM_RSRC2:TGID_X_EN: 1
; COMPUTE_PGM_RSRC2:TGID_Y_EN: 0
; COMPUTE_PGM_RSRC2:TGID_Z_EN: 0
; COMPUTE_PGM_RSRC2:TIDIG_COMP_CNT: 0
; COMPUTE_PGM_RSRC3_GFX90A:ACCUM_OFFSET: 1
; COMPUTE_PGM_RSRC3_GFX90A:TG_SPLIT: 0
	.section	.text._ZN2at6native12_GLOBAL__N_137compute_grad_weight_atomic_accumulateIddlEEvPKT1_PKT_S5_llS5_PKlS5_S5_S5_PT0_ll,"axG",@progbits,_ZN2at6native12_GLOBAL__N_137compute_grad_weight_atomic_accumulateIddlEEvPKT1_PKT_S5_llS5_PKlS5_S5_S5_PT0_ll,comdat
	.globl	_ZN2at6native12_GLOBAL__N_137compute_grad_weight_atomic_accumulateIddlEEvPKT1_PKT_S5_llS5_PKlS5_S5_S5_PT0_ll ; -- Begin function _ZN2at6native12_GLOBAL__N_137compute_grad_weight_atomic_accumulateIddlEEvPKT1_PKT_S5_llS5_PKlS5_S5_S5_PT0_ll
	.p2align	8
	.type	_ZN2at6native12_GLOBAL__N_137compute_grad_weight_atomic_accumulateIddlEEvPKT1_PKT_S5_llS5_PKlS5_S5_S5_PT0_ll,@function
_ZN2at6native12_GLOBAL__N_137compute_grad_weight_atomic_accumulateIddlEEvPKT1_PKT_S5_llS5_PKlS5_S5_S5_PT0_ll: ; @_ZN2at6native12_GLOBAL__N_137compute_grad_weight_atomic_accumulateIddlEEvPKT1_PKT_S5_llS5_PKlS5_S5_S5_PT0_ll
; %bb.0:
	s_load_dword s3, s[0:1], 0x74
	s_load_dwordx2 s[20:21], s[0:1], 0x60
	v_mov_b32_e32 v4, 0
	s_waitcnt lgkmcnt(0)
	s_and_b32 s3, s3, 0xffff
	s_mul_i32 s2, s2, s3
	v_add_u32_e32 v2, s2, v0
	v_ashrrev_i32_e32 v3, 31, v2
	v_or_b32_e32 v5, s21, v3
	v_cmp_ne_u64_e32 vcc, 0, v[4:5]
                                        ; implicit-def: $vgpr0_vgpr1
	s_and_saveexec_b64 s[2:3], vcc
	s_xor_b64 s[4:5], exec, s[2:3]
	s_cbranch_execz .LBB100_2
; %bb.1:
	s_ashr_i32 s6, s21, 31
	s_add_u32 s2, s20, s6
	s_mov_b32 s7, s6
	s_addc_u32 s3, s21, s6
	s_xor_b64 s[8:9], s[2:3], s[6:7]
	v_cvt_f32_u32_e32 v0, s8
	v_cvt_f32_u32_e32 v1, s9
	s_sub_u32 s2, 0, s8
	s_subb_u32 s3, 0, s9
	v_mov_b32_e32 v7, v4
	v_fmamk_f32 v0, v1, 0x4f800000, v0
	v_rcp_f32_e32 v0, v0
	s_nop 0
	v_mul_f32_e32 v0, 0x5f7ffffc, v0
	v_mul_f32_e32 v1, 0x2f800000, v0
	v_trunc_f32_e32 v1, v1
	v_fmamk_f32 v0, v1, 0xcf800000, v0
	v_cvt_u32_f32_e32 v5, v1
	v_cvt_u32_f32_e32 v8, v0
	v_mul_lo_u32 v0, s2, v5
	v_mul_hi_u32 v6, s2, v8
	v_mul_lo_u32 v1, s3, v8
	v_add_u32_e32 v0, v6, v0
	v_mul_lo_u32 v9, s2, v8
	v_add_u32_e32 v10, v0, v1
	v_mul_hi_u32 v1, v8, v10
	v_mul_lo_u32 v0, v8, v10
	v_mul_hi_u32 v6, v8, v9
	v_lshl_add_u64 v[0:1], v[6:7], 0, v[0:1]
	v_mul_hi_u32 v7, v5, v9
	v_mul_lo_u32 v9, v5, v9
	v_add_co_u32_e32 v0, vcc, v0, v9
	v_mul_hi_u32 v6, v5, v10
	s_nop 0
	v_addc_co_u32_e32 v0, vcc, v1, v7, vcc
	v_mov_b32_e32 v1, v4
	s_nop 0
	v_addc_co_u32_e32 v7, vcc, 0, v6, vcc
	v_mul_lo_u32 v6, v5, v10
	v_lshl_add_u64 v[0:1], v[0:1], 0, v[6:7]
	v_add_co_u32_e32 v8, vcc, v8, v0
	v_mul_lo_u32 v6, s2, v8
	s_nop 0
	v_addc_co_u32_e32 v5, vcc, v5, v1, vcc
	v_mul_lo_u32 v0, s2, v5
	v_mul_hi_u32 v1, s2, v8
	v_add_u32_e32 v0, v1, v0
	v_mul_lo_u32 v1, s3, v8
	v_add_u32_e32 v9, v0, v1
	v_mul_hi_u32 v11, v5, v6
	v_mul_lo_u32 v12, v5, v6
	v_mul_hi_u32 v1, v8, v9
	v_mul_lo_u32 v0, v8, v9
	v_mul_hi_u32 v6, v8, v6
	v_mov_b32_e32 v7, v4
	v_lshl_add_u64 v[0:1], v[6:7], 0, v[0:1]
	v_add_co_u32_e32 v0, vcc, v0, v12
	v_mul_hi_u32 v10, v5, v9
	s_nop 0
	v_addc_co_u32_e32 v0, vcc, v1, v11, vcc
	v_mul_lo_u32 v6, v5, v9
	s_nop 0
	v_addc_co_u32_e32 v7, vcc, 0, v10, vcc
	v_mov_b32_e32 v1, v4
	v_lshl_add_u64 v[0:1], v[0:1], 0, v[6:7]
	v_add_co_u32_e32 v10, vcc, v8, v0
	v_mov_b32_e32 v0, v3
	s_nop 0
	v_addc_co_u32_e32 v5, vcc, v5, v1, vcc
	v_mov_b32_e32 v1, v3
	v_lshl_add_u64 v[6:7], v[2:3], 0, v[0:1]
	v_xor_b32_e32 v13, v6, v0
	v_xor_b32_e32 v12, v7, v1
	v_mad_u64_u32 v[6:7], s[2:3], v13, v5, 0
	v_mul_hi_u32 v8, v13, v10
	v_mov_b32_e32 v9, v4
	v_lshl_add_u64 v[6:7], v[8:9], 0, v[6:7]
	v_mad_u64_u32 v[10:11], s[2:3], v12, v10, 0
	v_mad_u64_u32 v[8:9], s[2:3], v12, v5, 0
	v_add_co_u32_e32 v5, vcc, v6, v10
	v_xor_b32_e32 v0, s6, v0
	s_nop 0
	v_addc_co_u32_e32 v6, vcc, v7, v11, vcc
	v_mov_b32_e32 v7, v4
	s_nop 0
	v_addc_co_u32_e32 v9, vcc, 0, v9, vcc
	v_lshl_add_u64 v[4:5], v[6:7], 0, v[8:9]
	v_mul_lo_u32 v8, s9, v4
	v_mul_lo_u32 v9, s8, v5
	v_mad_u64_u32 v[6:7], s[2:3], s8, v4, 0
	v_add3_u32 v10, v7, v9, v8
	v_sub_u32_e32 v7, v12, v10
	v_mov_b32_e32 v8, s9
	v_sub_co_u32_e32 v11, vcc, v13, v6
	v_xor_b32_e32 v1, s6, v1
	s_nop 0
	v_subb_co_u32_e64 v6, s[2:3], v7, v8, vcc
	v_subrev_co_u32_e64 v7, s[2:3], s8, v11
	s_nop 1
	v_subbrev_co_u32_e64 v6, s[2:3], 0, v6, s[2:3]
	v_cmp_le_u32_e64 s[2:3], s9, v6
	s_nop 1
	v_cndmask_b32_e64 v8, 0, -1, s[2:3]
	v_cmp_le_u32_e64 s[2:3], s8, v7
	s_nop 1
	v_cndmask_b32_e64 v7, 0, -1, s[2:3]
	v_cmp_eq_u32_e64 s[2:3], s9, v6
	s_nop 1
	v_cndmask_b32_e64 v13, v8, v7, s[2:3]
	v_lshl_add_u64 v[6:7], v[4:5], 0, 2
	v_lshl_add_u64 v[8:9], v[4:5], 0, 1
	v_cmp_ne_u32_e64 s[2:3], 0, v13
	s_nop 1
	v_cndmask_b32_e64 v7, v9, v7, s[2:3]
	v_subb_co_u32_e32 v9, vcc, v12, v10, vcc
	v_cmp_le_u32_e32 vcc, s9, v9
	v_cndmask_b32_e64 v6, v8, v6, s[2:3]
	s_nop 0
	v_cndmask_b32_e64 v10, 0, -1, vcc
	v_cmp_le_u32_e32 vcc, s8, v11
	s_nop 1
	v_cndmask_b32_e64 v11, 0, -1, vcc
	v_cmp_eq_u32_e32 vcc, s9, v9
	s_nop 1
	v_cndmask_b32_e32 v9, v10, v11, vcc
	v_cmp_ne_u32_e32 vcc, 0, v9
	s_nop 1
	v_cndmask_b32_e32 v4, v4, v6, vcc
	v_cndmask_b32_e32 v5, v5, v7, vcc
	v_xor_b32_e32 v4, v4, v0
	v_xor_b32_e32 v5, v5, v1
	v_sub_co_u32_e32 v0, vcc, v4, v0
	s_nop 1
	v_subb_co_u32_e32 v1, vcc, v5, v1, vcc
.LBB100_2:
	s_or_saveexec_b64 s[2:3], s[4:5]
	s_load_dwordx16 s[4:19], s[0:1], 0x0
	s_xor_b64 exec, exec, s[2:3]
	s_cbranch_execz .LBB100_4
; %bb.3:
	v_cvt_f32_u32_e32 v0, s20
	s_sub_i32 s22, 0, s20
	v_rcp_iflag_f32_e32 v0, v0
	s_nop 0
	v_mul_f32_e32 v0, 0x4f7ffffe, v0
	v_cvt_u32_f32_e32 v0, v0
	v_mul_lo_u32 v1, s22, v0
	v_mul_hi_u32 v1, v0, v1
	v_add_u32_e32 v0, v0, v1
	v_mul_hi_u32 v0, v2, v0
	v_mul_lo_u32 v1, v0, s20
	v_sub_u32_e32 v1, v2, v1
	v_add_u32_e32 v4, 1, v0
	v_subrev_u32_e32 v5, s20, v1
	v_cmp_le_u32_e32 vcc, s20, v1
	s_nop 1
	v_cndmask_b32_e32 v1, v1, v5, vcc
	v_cndmask_b32_e32 v0, v0, v4, vcc
	v_add_u32_e32 v4, 1, v0
	v_cmp_le_u32_e32 vcc, s20, v1
	v_mov_b32_e32 v1, 0
	s_nop 0
	v_cndmask_b32_e32 v0, v0, v4, vcc
.LBB100_4:
	s_or_b64 exec, exec, s[2:3]
	v_mul_lo_u32 v1, v1, s20
	v_mul_lo_u32 v6, v0, s21
	v_mad_u64_u32 v[4:5], s[2:3], v0, s20, 0
	v_add3_u32 v1, v5, v6, v1
	v_sub_co_u32_e32 v2, vcc, v2, v4
	s_nop 1
	v_subb_co_u32_e32 v3, vcc, v3, v1, vcc
	s_waitcnt lgkmcnt(0)
	v_cmp_gt_i64_e32 vcc, s[12:13], v[2:3]
	s_and_saveexec_b64 s[2:3], vcc
	s_cbranch_execz .LBB100_17
; %bb.5:
	s_load_dwordx2 s[2:3], s[16:17], 0x0
	v_ashrrev_i32_e32 v1, 31, v0
	s_waitcnt lgkmcnt(0)
	v_cmp_gt_i64_e32 vcc, s[2:3], v[0:1]
	s_and_b64 exec, exec, vcc
	s_cbranch_execz .LBB100_17
; %bb.6:
	v_lshl_add_u64 v[4:5], v[0:1], 3, s[14:15]
	global_load_dwordx2 v[6:7], v[4:5], off
	s_load_dwordx8 s[20:27], s[0:1], 0x40
	s_add_u32 s0, s2, -1
	s_addc_u32 s1, s3, -1
	v_cmp_ne_u64_e32 vcc, s[0:1], v[0:1]
	v_mov_b64_e32 v[8:9], s[10:11]
	s_and_saveexec_b64 s[0:1], vcc
	s_cbranch_execz .LBB100_8
; %bb.7:
	s_mov_b32 s2, 0
	v_mov_b32_e32 v4, 0
	v_mov_b32_e32 v5, v0
	s_mov_b32 s3, 1
	v_lshl_add_u64 v[4:5], v[4:5], 0, s[2:3]
	v_ashrrev_i64 v[4:5], 29, v[4:5]
	v_lshl_add_u64 v[4:5], s[14:15], 0, v[4:5]
	global_load_dwordx2 v[8:9], v[4:5], off
.LBB100_8:
	s_or_b64 exec, exec, s[0:1]
	s_waitcnt vmcnt(0)
	v_cmp_lt_i64_e32 vcc, v[6:7], v[8:9]
	v_mov_b64_e32 v[4:5], 0
	s_and_saveexec_b64 s[2:3], vcc
	s_cbranch_execz .LBB100_15
; %bb.9:
	s_cmp_lg_u64 s[8:9], 0
	v_mov_b32_e32 v4, s6
	v_mov_b32_e32 v5, s7
	s_cselect_b64 s[0:1], -1, 0
	v_lshl_add_u64 v[10:11], v[2:3], 3, v[4:5]
	v_lshlrev_b64 v[4:5], 3, v[6:7]
	v_cndmask_b32_e64 v16, 0, 1, s[0:1]
	s_mov_b64 s[6:7], 0
	v_lshl_add_u64 v[12:13], s[8:9], 0, v[4:5]
	v_lshl_add_u64 v[14:15], s[4:5], 0, v[4:5]
	v_mov_b64_e32 v[4:5], 0
	v_cmp_ne_u32_e64 s[0:1], 1, v16
	s_branch .LBB100_12
.LBB100_10:                             ;   in Loop: Header=BB100_12 Depth=1
	global_load_dwordx2 v[18:19], v[12:13], off
	s_waitcnt vmcnt(0)
	v_cvt_f64_i32_e32 v[20:21], v19
	v_cvt_f64_u32_e32 v[18:19], v18
	v_ldexp_f64 v[20:21], v[20:21], 32
	v_add_f64 v[18:19], v[20:21], v[18:19]
	v_div_scale_f64 v[20:21], s[4:5], v[18:19], v[18:19], 1.0
	v_rcp_f64_e32 v[22:23], v[20:21]
	v_div_scale_f64 v[24:25], vcc, 1.0, v[18:19], 1.0
	v_fma_f64 v[26:27], -v[20:21], v[22:23], 1.0
	v_fmac_f64_e32 v[22:23], v[22:23], v[26:27]
	v_fma_f64 v[26:27], -v[20:21], v[22:23], 1.0
	v_fmac_f64_e32 v[22:23], v[22:23], v[26:27]
	v_mul_f64 v[26:27], v[24:25], v[22:23]
	v_fma_f64 v[20:21], -v[20:21], v[26:27], v[24:25]
	v_div_fmas_f64 v[20:21], v[20:21], v[22:23], v[26:27]
	v_div_fixup_f64 v[18:19], v[20:21], v[18:19], 1.0
.LBB100_11:                             ;   in Loop: Header=BB100_12 Depth=1
	s_waitcnt vmcnt(0)
	v_mul_lo_u32 v20, v17, s12
	v_mul_lo_u32 v21, v16, s13
	v_mad_u64_u32 v[16:17], s[4:5], v16, s12, 0
	v_add3_u32 v17, v17, v21, v20
	v_lshl_add_u64 v[16:17], v[16:17], 3, v[10:11]
	global_load_dwordx2 v[16:17], v[16:17], off
	v_lshl_add_u64 v[6:7], v[6:7], 0, 1
	v_cmp_ge_i64_e32 vcc, v[6:7], v[8:9]
	v_lshl_add_u64 v[12:13], v[12:13], 0, 8
	s_or_b64 s[6:7], vcc, s[6:7]
	v_lshl_add_u64 v[14:15], v[14:15], 0, 8
	s_waitcnt vmcnt(0)
	v_fmac_f64_e32 v[4:5], v[18:19], v[16:17]
	s_andn2_b64 exec, exec, s[6:7]
	s_cbranch_execz .LBB100_14
.LBB100_12:                             ; =>This Inner Loop Header: Depth=1
	global_load_dwordx2 v[16:17], v[14:15], off
	s_and_b64 vcc, exec, s[0:1]
	s_cbranch_vccz .LBB100_10
; %bb.13:                               ;   in Loop: Header=BB100_12 Depth=1
	v_mov_b64_e32 v[18:19], 1.0
	s_branch .LBB100_11
.LBB100_14:
	s_or_b64 exec, exec, s[6:7]
.LBB100_15:
	s_or_b64 exec, exec, s[2:3]
	s_waitcnt lgkmcnt(0)
	v_mov_b32_e32 v6, s20
	v_mov_b32_e32 v7, s21
	v_lshl_add_u64 v[0:1], v[0:1], 3, v[6:7]
	global_load_dwordx2 v[0:1], v[0:1], off
	v_mov_b32_e32 v6, s22
	v_mov_b32_e32 v7, s23
	s_waitcnt vmcnt(0)
	v_lshl_add_u64 v[0:1], v[0:1], 3, v[6:7]
	global_load_dwordx2 v[0:1], v[0:1], off
	v_mov_b32_e32 v6, s18
	v_mov_b32_e32 v7, s19
	s_waitcnt vmcnt(0)
	v_lshl_add_u64 v[0:1], v[0:1], 3, v[6:7]
	global_load_dwordx2 v[0:1], v[0:1], off
	s_waitcnt vmcnt(0)
	v_cmp_ne_u64_e32 vcc, s[26:27], v[0:1]
	s_and_b64 exec, exec, vcc
	s_cbranch_execz .LBB100_17
; %bb.16:
	v_mul_lo_u32 v8, v1, s12
	v_mul_lo_u32 v9, v0, s13
	v_mad_u64_u32 v[0:1], s[0:1], v0, s12, 0
	v_mov_b32_e32 v6, s24
	v_mov_b32_e32 v7, s25
	v_add3_u32 v1, v1, v9, v8
	v_lshl_add_u64 v[0:1], v[0:1], 3, v[6:7]
	v_lshl_add_u64 v[0:1], v[2:3], 3, v[0:1]
	global_atomic_add_f64 v[0:1], v[4:5], off sc1
.LBB100_17:
	s_endpgm
	.section	.rodata,"a",@progbits
	.p2align	6, 0x0
	.amdhsa_kernel _ZN2at6native12_GLOBAL__N_137compute_grad_weight_atomic_accumulateIddlEEvPKT1_PKT_S5_llS5_PKlS5_S5_S5_PT0_ll
		.amdhsa_group_segment_fixed_size 0
		.amdhsa_private_segment_fixed_size 0
		.amdhsa_kernarg_size 360
		.amdhsa_user_sgpr_count 2
		.amdhsa_user_sgpr_dispatch_ptr 0
		.amdhsa_user_sgpr_queue_ptr 0
		.amdhsa_user_sgpr_kernarg_segment_ptr 1
		.amdhsa_user_sgpr_dispatch_id 0
		.amdhsa_user_sgpr_kernarg_preload_length 0
		.amdhsa_user_sgpr_kernarg_preload_offset 0
		.amdhsa_user_sgpr_private_segment_size 0
		.amdhsa_uses_dynamic_stack 0
		.amdhsa_enable_private_segment 0
		.amdhsa_system_sgpr_workgroup_id_x 1
		.amdhsa_system_sgpr_workgroup_id_y 0
		.amdhsa_system_sgpr_workgroup_id_z 0
		.amdhsa_system_sgpr_workgroup_info 0
		.amdhsa_system_vgpr_workitem_id 0
		.amdhsa_next_free_vgpr 28
		.amdhsa_next_free_sgpr 28
		.amdhsa_accum_offset 28
		.amdhsa_reserve_vcc 1
		.amdhsa_float_round_mode_32 0
		.amdhsa_float_round_mode_16_64 0
		.amdhsa_float_denorm_mode_32 3
		.amdhsa_float_denorm_mode_16_64 3
		.amdhsa_dx10_clamp 1
		.amdhsa_ieee_mode 1
		.amdhsa_fp16_overflow 0
		.amdhsa_tg_split 0
		.amdhsa_exception_fp_ieee_invalid_op 0
		.amdhsa_exception_fp_denorm_src 0
		.amdhsa_exception_fp_ieee_div_zero 0
		.amdhsa_exception_fp_ieee_overflow 0
		.amdhsa_exception_fp_ieee_underflow 0
		.amdhsa_exception_fp_ieee_inexact 0
		.amdhsa_exception_int_div_zero 0
	.end_amdhsa_kernel
	.section	.text._ZN2at6native12_GLOBAL__N_137compute_grad_weight_atomic_accumulateIddlEEvPKT1_PKT_S5_llS5_PKlS5_S5_S5_PT0_ll,"axG",@progbits,_ZN2at6native12_GLOBAL__N_137compute_grad_weight_atomic_accumulateIddlEEvPKT1_PKT_S5_llS5_PKlS5_S5_S5_PT0_ll,comdat
.Lfunc_end100:
	.size	_ZN2at6native12_GLOBAL__N_137compute_grad_weight_atomic_accumulateIddlEEvPKT1_PKT_S5_llS5_PKlS5_S5_S5_PT0_ll, .Lfunc_end100-_ZN2at6native12_GLOBAL__N_137compute_grad_weight_atomic_accumulateIddlEEvPKT1_PKT_S5_llS5_PKlS5_S5_S5_PT0_ll
                                        ; -- End function
	.section	.AMDGPU.csdata,"",@progbits
; Kernel info:
; codeLenInByte = 1660
; NumSgprs: 34
; NumVgprs: 28
; NumAgprs: 0
; TotalNumVgprs: 28
; ScratchSize: 0
; MemoryBound: 0
; FloatMode: 240
; IeeeMode: 1
; LDSByteSize: 0 bytes/workgroup (compile time only)
; SGPRBlocks: 4
; VGPRBlocks: 3
; NumSGPRsForWavesPerEU: 34
; NumVGPRsForWavesPerEU: 28
; AccumOffset: 28
; Occupancy: 8
; WaveLimiterHint : 1
; COMPUTE_PGM_RSRC2:SCRATCH_EN: 0
; COMPUTE_PGM_RSRC2:USER_SGPR: 2
; COMPUTE_PGM_RSRC2:TRAP_HANDLER: 0
; COMPUTE_PGM_RSRC2:TGID_X_EN: 1
; COMPUTE_PGM_RSRC2:TGID_Y_EN: 0
; COMPUTE_PGM_RSRC2:TGID_Z_EN: 0
; COMPUTE_PGM_RSRC2:TIDIG_COMP_CNT: 0
; COMPUTE_PGM_RSRC3_GFX90A:ACCUM_OFFSET: 6
; COMPUTE_PGM_RSRC3_GFX90A:TG_SPLIT: 0
	.section	.text._ZN2at6native12_GLOBAL__N_124compute_grad_weight_bagsIdlEEvPKT0_PKT_S5_S5_lliS5_S8_lS5_PKlPNS_14AccumulateTypeIS6_Lb1EE4typeEl,"axG",@progbits,_ZN2at6native12_GLOBAL__N_124compute_grad_weight_bagsIdlEEvPKT0_PKT_S5_S5_lliS5_S8_lS5_PKlPNS_14AccumulateTypeIS6_Lb1EE4typeEl,comdat
	.globl	_ZN2at6native12_GLOBAL__N_124compute_grad_weight_bagsIdlEEvPKT0_PKT_S5_S5_lliS5_S8_lS5_PKlPNS_14AccumulateTypeIS6_Lb1EE4typeEl ; -- Begin function _ZN2at6native12_GLOBAL__N_124compute_grad_weight_bagsIdlEEvPKT0_PKT_S5_S5_lliS5_S8_lS5_PKlPNS_14AccumulateTypeIS6_Lb1EE4typeEl
	.p2align	8
	.type	_ZN2at6native12_GLOBAL__N_124compute_grad_weight_bagsIdlEEvPKT0_PKT_S5_S5_lliS5_S8_lS5_PKlPNS_14AccumulateTypeIS6_Lb1EE4typeEl,@function
_ZN2at6native12_GLOBAL__N_124compute_grad_weight_bagsIdlEEvPKT0_PKT_S5_S5_lliS5_S8_lS5_PKlPNS_14AccumulateTypeIS6_Lb1EE4typeEl: ; @_ZN2at6native12_GLOBAL__N_124compute_grad_weight_bagsIdlEEvPKT0_PKT_S5_S5_lliS5_S8_lS5_PKlPNS_14AccumulateTypeIS6_Lb1EE4typeEl
; %bb.0:
	s_load_dword s3, s[0:1], 0x7c
	s_load_dwordx4 s[4:7], s[0:1], 0x58
	s_load_dwordx2 s[8:9], s[0:1], 0x68
	v_mov_b32_e32 v1, 0
	v_mov_b32_e32 v2, s2
	s_waitcnt lgkmcnt(0)
	s_and_b32 s3, s3, 0xffff
	v_mad_u64_u32 v[4:5], s[2:3], s3, v2, v[0:1]
	v_or_b32_e32 v3, s9, v5
	v_mov_b32_e32 v2, v1
	v_cmp_ne_u64_e32 vcc, 0, v[2:3]
                                        ; implicit-def: $vgpr2_vgpr3
	s_and_saveexec_b64 s[2:3], vcc
	s_xor_b64 s[10:11], exec, s[2:3]
	s_cbranch_execz .LBB101_2
; %bb.1:
	s_ashr_i32 s12, s9, 31
	s_add_u32 s2, s8, s12
	s_mov_b32 s13, s12
	s_addc_u32 s3, s9, s12
	s_xor_b64 s[14:15], s[2:3], s[12:13]
	v_cvt_f32_u32_e32 v0, s14
	v_cvt_f32_u32_e32 v2, s15
	s_sub_u32 s2, 0, s14
	s_subb_u32 s3, 0, s15
	v_fmamk_f32 v0, v2, 0x4f800000, v0
	v_rcp_f32_e32 v0, v0
	s_nop 0
	v_mul_f32_e32 v0, 0x5f7ffffc, v0
	v_mul_f32_e32 v2, 0x2f800000, v0
	v_trunc_f32_e32 v2, v2
	v_fmamk_f32 v0, v2, 0xcf800000, v0
	v_cvt_u32_f32_e32 v6, v2
	v_cvt_u32_f32_e32 v7, v0
	v_mul_lo_u32 v0, s2, v6
	v_mul_hi_u32 v3, s2, v7
	v_mul_lo_u32 v2, s3, v7
	v_add_u32_e32 v0, v3, v0
	v_mul_lo_u32 v8, s2, v7
	v_add_u32_e32 v9, v0, v2
	v_mul_hi_u32 v3, v7, v9
	v_mul_lo_u32 v2, v7, v9
	v_mul_hi_u32 v0, v7, v8
	v_lshl_add_u64 v[2:3], v[0:1], 0, v[2:3]
	v_mul_hi_u32 v0, v6, v8
	v_mul_lo_u32 v8, v6, v8
	v_add_co_u32_e32 v2, vcc, v2, v8
	v_mul_hi_u32 v10, v6, v9
	s_nop 0
	v_addc_co_u32_e32 v0, vcc, v3, v0, vcc
	v_mul_lo_u32 v2, v6, v9
	s_nop 0
	v_addc_co_u32_e32 v3, vcc, 0, v10, vcc
	v_lshl_add_u64 v[2:3], v[0:1], 0, v[2:3]
	v_add_co_u32_e32 v7, vcc, v7, v2
	v_mul_hi_u32 v2, s2, v7
	s_nop 0
	v_addc_co_u32_e32 v6, vcc, v6, v3, vcc
	v_mul_lo_u32 v0, s2, v6
	v_add_u32_e32 v0, v2, v0
	v_mul_lo_u32 v2, s3, v7
	v_add_u32_e32 v8, v0, v2
	v_mul_lo_u32 v0, s2, v7
	v_mul_hi_u32 v10, v6, v0
	v_mul_lo_u32 v11, v6, v0
	v_mul_hi_u32 v3, v7, v8
	;; [unrolled: 2-line block ×3, first 2 shown]
	v_lshl_add_u64 v[2:3], v[0:1], 0, v[2:3]
	v_add_co_u32_e32 v0, vcc, v2, v11
	v_mul_hi_u32 v9, v6, v8
	s_nop 0
	v_addc_co_u32_e32 v0, vcc, v3, v10, vcc
	v_mul_lo_u32 v2, v6, v8
	s_nop 0
	v_addc_co_u32_e32 v3, vcc, 0, v9, vcc
	v_lshl_add_u64 v[2:3], v[0:1], 0, v[2:3]
	v_add_co_u32_e32 v10, vcc, v7, v2
	v_ashrrev_i32_e32 v2, 31, v5
	s_nop 0
	v_addc_co_u32_e32 v8, vcc, v6, v3, vcc
	v_mov_b32_e32 v3, v2
	v_lshl_add_u64 v[6:7], v[4:5], 0, v[2:3]
	v_xor_b32_e32 v12, v6, v2
	v_xor_b32_e32 v3, v7, v2
	v_mad_u64_u32 v[6:7], s[2:3], v12, v8, 0
	v_mul_hi_u32 v0, v12, v10
	v_lshl_add_u64 v[6:7], v[0:1], 0, v[6:7]
	v_mad_u64_u32 v[10:11], s[2:3], v3, v10, 0
	v_add_co_u32_e32 v0, vcc, v6, v10
	v_mad_u64_u32 v[8:9], s[2:3], v3, v8, 0
	s_nop 0
	v_addc_co_u32_e32 v0, vcc, v7, v11, vcc
	s_nop 1
	v_addc_co_u32_e32 v9, vcc, 0, v9, vcc
	v_lshl_add_u64 v[0:1], v[0:1], 0, v[8:9]
	v_mul_lo_u32 v8, s15, v0
	v_mul_lo_u32 v9, s14, v1
	v_mad_u64_u32 v[6:7], s[2:3], s14, v0, 0
	v_add3_u32 v10, v7, v9, v8
	v_sub_u32_e32 v7, v3, v10
	v_mov_b32_e32 v8, s15
	v_sub_co_u32_e32 v11, vcc, v12, v6
	s_nop 1
	v_subb_co_u32_e64 v6, s[2:3], v7, v8, vcc
	v_subrev_co_u32_e64 v7, s[2:3], s14, v11
	v_subb_co_u32_e32 v3, vcc, v3, v10, vcc
	s_nop 0
	v_subbrev_co_u32_e64 v6, s[2:3], 0, v6, s[2:3]
	v_cmp_le_u32_e64 s[2:3], s15, v6
	v_cmp_le_u32_e32 vcc, s15, v3
	s_nop 0
	v_cndmask_b32_e64 v8, 0, -1, s[2:3]
	v_cmp_le_u32_e64 s[2:3], s14, v7
	s_nop 1
	v_cndmask_b32_e64 v7, 0, -1, s[2:3]
	v_cmp_eq_u32_e64 s[2:3], s15, v6
	s_nop 1
	v_cndmask_b32_e64 v12, v8, v7, s[2:3]
	v_lshl_add_u64 v[6:7], v[0:1], 0, 2
	v_lshl_add_u64 v[8:9], v[0:1], 0, 1
	v_cmp_ne_u32_e64 s[2:3], 0, v12
	s_nop 1
	v_cndmask_b32_e64 v7, v9, v7, s[2:3]
	v_cndmask_b32_e64 v9, 0, -1, vcc
	v_cmp_le_u32_e32 vcc, s14, v11
	s_nop 1
	v_cndmask_b32_e64 v10, 0, -1, vcc
	v_cmp_eq_u32_e32 vcc, s15, v3
	s_nop 1
	v_cndmask_b32_e32 v3, v9, v10, vcc
	v_cmp_ne_u32_e32 vcc, 0, v3
	v_cndmask_b32_e64 v3, v8, v6, s[2:3]
	s_nop 0
	v_cndmask_b32_e32 v0, v0, v3, vcc
	v_xor_b32_e32 v3, s12, v2
	v_cndmask_b32_e32 v1, v1, v7, vcc
	v_xor_b32_e32 v0, v0, v3
	v_xor_b32_e32 v1, v1, v3
	v_sub_co_u32_e32 v2, vcc, v0, v3
	s_nop 1
	v_subb_co_u32_e32 v3, vcc, v1, v3, vcc
.LBB101_2:
	s_or_saveexec_b64 s[2:3], s[10:11]
	s_load_dwordx2 s[4:5], s[4:5], 0x0
	s_xor_b64 exec, exec, s[2:3]
	s_cbranch_execz .LBB101_4
; %bb.3:
	v_cvt_f32_u32_e32 v0, s8
	s_sub_i32 s10, 0, s8
	v_rcp_iflag_f32_e32 v0, v0
	s_nop 0
	v_mul_f32_e32 v0, 0x4f7ffffe, v0
	v_cvt_u32_f32_e32 v0, v0
	v_mul_lo_u32 v1, s10, v0
	v_mul_hi_u32 v1, v0, v1
	v_add_u32_e32 v0, v0, v1
	v_mul_hi_u32 v0, v4, v0
	v_mul_lo_u32 v1, v0, s8
	v_sub_u32_e32 v1, v4, v1
	v_add_u32_e32 v2, 1, v0
	v_subrev_u32_e32 v3, s8, v1
	v_cmp_le_u32_e32 vcc, s8, v1
	s_nop 1
	v_cndmask_b32_e32 v1, v1, v3, vcc
	v_cndmask_b32_e32 v0, v0, v2, vcc
	v_add_u32_e32 v2, 1, v0
	v_cmp_le_u32_e32 vcc, s8, v1
	v_mov_b32_e32 v3, 0
	s_nop 0
	v_cndmask_b32_e32 v2, v0, v2, vcc
.LBB101_4:
	s_or_b64 exec, exec, s[2:3]
	s_load_dwordx4 s[24:27], s[0:1], 0x20
	v_mul_lo_u32 v6, v3, s8
	v_mul_lo_u32 v7, v2, s9
	v_mad_u64_u32 v[0:1], s[2:3], v2, s8, 0
	v_add3_u32 v1, v1, v7, v6
	v_sub_co_u32_e32 v0, vcc, v4, v0
	s_waitcnt lgkmcnt(0)
	v_cmp_gt_i64_e64 s[2:3], s[4:5], v[2:3]
	v_subb_co_u32_e32 v1, vcc, v5, v1, vcc
	v_cmp_gt_i64_e32 vcc, s[26:27], v[0:1]
	s_and_b64 s[2:3], vcc, s[2:3]
	s_and_saveexec_b64 s[8:9], s[2:3]
	s_cbranch_execz .LBB101_18
; %bb.5:
	s_load_dwordx8 s[8:15], s[0:1], 0x38
	s_load_dwordx8 s[16:23], s[0:1], 0x0
	s_add_u32 s2, s4, -1
	s_addc_u32 s3, s5, -1
	v_cmp_ne_u64_e32 vcc, s[2:3], v[2:3]
	s_waitcnt lgkmcnt(0)
	v_mov_b32_e32 v4, s14
	v_mov_b32_e32 v5, s15
	v_lshl_add_u64 v[8:9], v[2:3], 3, v[4:5]
	global_load_dwordx2 v[4:5], v[8:9], off
	v_mov_b64_e32 v[6:7], s[24:25]
	s_and_saveexec_b64 s[2:3], vcc
	s_cbranch_execz .LBB101_7
; %bb.6:
	global_load_dwordx2 v[6:7], v[8:9], off offset:8
.LBB101_7:
	s_or_b64 exec, exec, s[2:3]
	s_waitcnt vmcnt(0)
	v_cmp_lt_i32_e32 vcc, v4, v6
	v_mov_b64_e32 v[10:11], 0
	s_and_saveexec_b64 s[14:15], vcc
	s_cbranch_execz .LBB101_17
; %bb.8:
	s_load_dword s4, s[0:1], 0x30
	s_cmp_lg_u64 s[22:23], 0
	s_cselect_b64 s[0:1], -1, 0
	s_cmp_lg_u64 s[10:11], 0
	v_ashrrev_i32_e32 v5, 31, v4
	s_cselect_b64 s[2:3], -1, 0
	s_waitcnt lgkmcnt(0)
	s_cmp_lg_u32 s4, 0
	v_lshlrev_b64 v[10:11], 3, v[4:5]
	v_cndmask_b32_e64 v5, 0, 1, s[0:1]
	v_cmp_ne_u32_e64 s[0:1], 1, v5
	v_cndmask_b32_e64 v5, 0, 1, s[2:3]
	s_cselect_b64 s[4:5], -1, 0
	v_mov_b32_e32 v8, s18
	v_mov_b32_e32 v9, s19
	v_cmp_ne_u32_e64 s[2:3], 1, v5
	v_cndmask_b32_e64 v5, 0, 1, s[4:5]
	v_lshl_add_u64 v[8:9], v[0:1], 3, v[8:9]
	s_mov_b64 s[18:19], 0
	s_mov_b32 s24, s26
	v_lshl_add_u64 v[12:13], s[16:17], 0, v[10:11]
	v_lshl_add_u64 v[14:15], s[22:23], 0, v[10:11]
	v_mov_b64_e32 v[10:11], 0
	v_cmp_ne_u32_e64 s[4:5], 1, v5
	v_mov_b32_e32 v16, 0
	s_branch .LBB101_10
.LBB101_9:                              ;   in Loop: Header=BB101_10 Depth=1
	v_add_u32_e32 v4, 1, v4
	v_cmp_ge_i32_e32 vcc, v4, v6
	s_waitcnt vmcnt(0)
	v_fmac_f64_e32 v[10:11], v[18:19], v[22:23]
	v_lshl_add_u64 v[12:13], v[12:13], 0, 8
	s_or_b64 s[18:19], vcc, s[18:19]
	v_lshl_add_u64 v[14:15], v[14:15], 0, 8
	s_andn2_b64 exec, exec, s[18:19]
	s_cbranch_execz .LBB101_16
.LBB101_10:                             ; =>This Inner Loop Header: Depth=1
	global_load_dword v22, v[12:13], off
	s_and_b64 vcc, exec, s[0:1]
	s_waitcnt vmcnt(0)
	v_ashrrev_i32_e32 v23, 31, v22
	v_lshl_add_u64 v[18:19], v[22:23], 3, s[20:21]
	global_load_dwordx2 v[20:21], v[18:19], off
	s_cbranch_vccnz .LBB101_15
; %bb.11:                               ;   in Loop: Header=BB101_10 Depth=1
	global_load_dwordx2 v[18:19], v[14:15], off
	s_waitcnt vmcnt(0)
	v_cvt_f64_i32_e32 v[24:25], v19
	v_cvt_f64_u32_e32 v[18:19], v18
	v_ldexp_f64 v[24:25], v[24:25], 32
	v_add_f64 v[18:19], v[24:25], v[18:19]
	v_div_scale_f64 v[24:25], s[16:17], v[18:19], v[18:19], 1.0
	v_rcp_f64_e32 v[26:27], v[24:25]
	v_div_scale_f64 v[28:29], vcc, 1.0, v[18:19], 1.0
	v_fma_f64 v[30:31], -v[24:25], v[26:27], 1.0
	v_fmac_f64_e32 v[26:27], v[26:27], v[30:31]
	v_fma_f64 v[30:31], -v[24:25], v[26:27], 1.0
	v_fmac_f64_e32 v[26:27], v[26:27], v[30:31]
	v_mul_f64 v[30:31], v[28:29], v[26:27]
	v_fma_f64 v[24:25], -v[24:25], v[30:31], v[28:29]
	v_div_fmas_f64 v[24:25], v[24:25], v[26:27], v[30:31]
	v_div_fixup_f64 v[18:19], v[24:25], v[18:19], 1.0
	s_and_b64 vcc, exec, s[2:3]
	s_cbranch_vccnz .LBB101_13
.LBB101_12:                             ;   in Loop: Header=BB101_10 Depth=1
	v_mul_lo_u32 v5, v23, s12
	v_mul_lo_u32 v7, v22, s13
	v_mad_u64_u32 v[22:23], s[16:17], v22, s12, 0
	v_add3_u32 v23, v23, v7, v5
	v_lshl_add_u64 v[22:23], v[22:23], 3, s[10:11]
	global_load_dwordx2 v[22:23], v[22:23], off
	s_waitcnt vmcnt(0)
	v_mul_f64 v[18:19], v[18:19], v[22:23]
.LBB101_13:                             ;   in Loop: Header=BB101_10 Depth=1
	s_waitcnt vmcnt(0)
	v_mul_lo_u32 v5, s24, v20
	v_mul_lo_u32 v7, 0, v21
	v_mad_u64_u32 v[22:23], s[16:17], 0, v20, 0
	v_add3_u32 v23, v23, v7, v5
	v_ashrrev_i64 v[22:23], 29, v[22:23]
	v_lshl_add_u64 v[22:23], v[8:9], 0, v[22:23]
	global_load_dwordx2 v[22:23], v[22:23], off
	s_and_b64 vcc, exec, s[4:5]
	s_cbranch_vccnz .LBB101_9
; %bb.14:                               ;   in Loop: Header=BB101_10 Depth=1
	v_mov_b32_e32 v17, v20
	v_ashrrev_i64 v[20:21], 29, v[16:17]
	v_lshl_add_u64 v[20:21], s[8:9], 0, v[20:21]
	global_load_dwordx2 v[20:21], v[20:21], off
	s_waitcnt vmcnt(0)
	v_cvt_f64_i32_e32 v[24:25], v21
	v_cvt_f64_u32_e32 v[20:21], v20
	v_ldexp_f64 v[24:25], v[24:25], 32
	v_add_f64 v[20:21], v[24:25], v[20:21]
	v_div_scale_f64 v[24:25], s[16:17], v[20:21], v[20:21], v[22:23]
	v_rcp_f64_e32 v[26:27], v[24:25]
	v_div_scale_f64 v[28:29], vcc, v[22:23], v[20:21], v[22:23]
	v_fma_f64 v[30:31], -v[24:25], v[26:27], 1.0
	v_fmac_f64_e32 v[26:27], v[26:27], v[30:31]
	v_fma_f64 v[30:31], -v[24:25], v[26:27], 1.0
	v_fmac_f64_e32 v[26:27], v[26:27], v[30:31]
	v_mul_f64 v[30:31], v[28:29], v[26:27]
	v_fma_f64 v[24:25], -v[24:25], v[30:31], v[28:29]
	v_div_fmas_f64 v[24:25], v[24:25], v[26:27], v[30:31]
	v_div_fixup_f64 v[22:23], v[24:25], v[20:21], v[22:23]
	s_branch .LBB101_9
.LBB101_15:                             ;   in Loop: Header=BB101_10 Depth=1
	v_mov_b64_e32 v[18:19], 1.0
	s_and_b64 vcc, exec, s[2:3]
	s_cbranch_vccz .LBB101_12
	s_branch .LBB101_13
.LBB101_16:
	s_or_b64 exec, exec, s[18:19]
.LBB101_17:
	s_or_b64 exec, exec, s[14:15]
	v_mul_lo_u32 v6, v3, s26
	v_mul_lo_u32 v7, v2, s27
	v_mad_u64_u32 v[2:3], s[0:1], v2, s26, 0
	v_mov_b32_e32 v4, s6
	v_mov_b32_e32 v5, s7
	v_add3_u32 v3, v3, v7, v6
	v_lshl_add_u64 v[2:3], v[2:3], 3, v[4:5]
	v_lshl_add_u64 v[0:1], v[0:1], 3, v[2:3]
	global_store_dwordx2 v[0:1], v[10:11], off
.LBB101_18:
	s_endpgm
	.section	.rodata,"a",@progbits
	.p2align	6, 0x0
	.amdhsa_kernel _ZN2at6native12_GLOBAL__N_124compute_grad_weight_bagsIdlEEvPKT0_PKT_S5_S5_lliS5_S8_lS5_PKlPNS_14AccumulateTypeIS6_Lb1EE4typeEl
		.amdhsa_group_segment_fixed_size 0
		.amdhsa_private_segment_fixed_size 0
		.amdhsa_kernarg_size 368
		.amdhsa_user_sgpr_count 2
		.amdhsa_user_sgpr_dispatch_ptr 0
		.amdhsa_user_sgpr_queue_ptr 0
		.amdhsa_user_sgpr_kernarg_segment_ptr 1
		.amdhsa_user_sgpr_dispatch_id 0
		.amdhsa_user_sgpr_kernarg_preload_length 0
		.amdhsa_user_sgpr_kernarg_preload_offset 0
		.amdhsa_user_sgpr_private_segment_size 0
		.amdhsa_uses_dynamic_stack 0
		.amdhsa_enable_private_segment 0
		.amdhsa_system_sgpr_workgroup_id_x 1
		.amdhsa_system_sgpr_workgroup_id_y 0
		.amdhsa_system_sgpr_workgroup_id_z 0
		.amdhsa_system_sgpr_workgroup_info 0
		.amdhsa_system_vgpr_workitem_id 0
		.amdhsa_next_free_vgpr 32
		.amdhsa_next_free_sgpr 28
		.amdhsa_accum_offset 32
		.amdhsa_reserve_vcc 1
		.amdhsa_float_round_mode_32 0
		.amdhsa_float_round_mode_16_64 0
		.amdhsa_float_denorm_mode_32 3
		.amdhsa_float_denorm_mode_16_64 3
		.amdhsa_dx10_clamp 1
		.amdhsa_ieee_mode 1
		.amdhsa_fp16_overflow 0
		.amdhsa_tg_split 0
		.amdhsa_exception_fp_ieee_invalid_op 0
		.amdhsa_exception_fp_denorm_src 0
		.amdhsa_exception_fp_ieee_div_zero 0
		.amdhsa_exception_fp_ieee_overflow 0
		.amdhsa_exception_fp_ieee_underflow 0
		.amdhsa_exception_fp_ieee_inexact 0
		.amdhsa_exception_int_div_zero 0
	.end_amdhsa_kernel
	.section	.text._ZN2at6native12_GLOBAL__N_124compute_grad_weight_bagsIdlEEvPKT0_PKT_S5_S5_lliS5_S8_lS5_PKlPNS_14AccumulateTypeIS6_Lb1EE4typeEl,"axG",@progbits,_ZN2at6native12_GLOBAL__N_124compute_grad_weight_bagsIdlEEvPKT0_PKT_S5_S5_lliS5_S8_lS5_PKlPNS_14AccumulateTypeIS6_Lb1EE4typeEl,comdat
.Lfunc_end101:
	.size	_ZN2at6native12_GLOBAL__N_124compute_grad_weight_bagsIdlEEvPKT0_PKT_S5_S5_lliS5_S8_lS5_PKlPNS_14AccumulateTypeIS6_Lb1EE4typeEl, .Lfunc_end101-_ZN2at6native12_GLOBAL__N_124compute_grad_weight_bagsIdlEEvPKT0_PKT_S5_S5_lliS5_S8_lS5_PKlPNS_14AccumulateTypeIS6_Lb1EE4typeEl
                                        ; -- End function
	.section	.AMDGPU.csdata,"",@progbits
; Kernel info:
; codeLenInByte = 1828
; NumSgprs: 34
; NumVgprs: 32
; NumAgprs: 0
; TotalNumVgprs: 32
; ScratchSize: 0
; MemoryBound: 0
; FloatMode: 240
; IeeeMode: 1
; LDSByteSize: 0 bytes/workgroup (compile time only)
; SGPRBlocks: 4
; VGPRBlocks: 3
; NumSGPRsForWavesPerEU: 34
; NumVGPRsForWavesPerEU: 32
; AccumOffset: 32
; Occupancy: 8
; WaveLimiterHint : 1
; COMPUTE_PGM_RSRC2:SCRATCH_EN: 0
; COMPUTE_PGM_RSRC2:USER_SGPR: 2
; COMPUTE_PGM_RSRC2:TRAP_HANDLER: 0
; COMPUTE_PGM_RSRC2:TGID_X_EN: 1
; COMPUTE_PGM_RSRC2:TGID_Y_EN: 0
; COMPUTE_PGM_RSRC2:TGID_Z_EN: 0
; COMPUTE_PGM_RSRC2:TIDIG_COMP_CNT: 0
; COMPUTE_PGM_RSRC3_GFX90A:ACCUM_OFFSET: 7
; COMPUTE_PGM_RSRC3_GFX90A:TG_SPLIT: 0
	.section	.text._ZN2at6native12_GLOBAL__N_119compute_grad_weightIdlEEvPKT0_PKT_S5_llS5_PKlPNS_14AccumulateTypeIS6_Lb1EE4typeEl,"axG",@progbits,_ZN2at6native12_GLOBAL__N_119compute_grad_weightIdlEEvPKT0_PKT_S5_llS5_PKlPNS_14AccumulateTypeIS6_Lb1EE4typeEl,comdat
	.globl	_ZN2at6native12_GLOBAL__N_119compute_grad_weightIdlEEvPKT0_PKT_S5_llS5_PKlPNS_14AccumulateTypeIS6_Lb1EE4typeEl ; -- Begin function _ZN2at6native12_GLOBAL__N_119compute_grad_weightIdlEEvPKT0_PKT_S5_llS5_PKlPNS_14AccumulateTypeIS6_Lb1EE4typeEl
	.p2align	8
	.type	_ZN2at6native12_GLOBAL__N_119compute_grad_weightIdlEEvPKT0_PKT_S5_llS5_PKlPNS_14AccumulateTypeIS6_Lb1EE4typeEl,@function
_ZN2at6native12_GLOBAL__N_119compute_grad_weightIdlEEvPKT0_PKT_S5_llS5_PKlPNS_14AccumulateTypeIS6_Lb1EE4typeEl: ; @_ZN2at6native12_GLOBAL__N_119compute_grad_weightIdlEEvPKT0_PKT_S5_llS5_PKlPNS_14AccumulateTypeIS6_Lb1EE4typeEl
; %bb.0:
	s_load_dword s3, s[0:1], 0x54
	s_load_dwordx2 s[20:21], s[0:1], 0x40
	s_load_dwordx16 s[4:19], s[0:1], 0x0
	v_mov_b32_e32 v1, 0
	v_mov_b32_e32 v2, s2
	s_waitcnt lgkmcnt(0)
	s_and_b32 s0, s3, 0xffff
	v_mad_u64_u32 v[2:3], s[0:1], s0, v2, v[0:1]
	v_or_b32_e32 v5, s21, v3
	v_mov_b32_e32 v4, v1
	v_cmp_ne_u64_e32 vcc, 0, v[4:5]
                                        ; implicit-def: $vgpr4_vgpr5
	s_and_saveexec_b64 s[0:1], vcc
	s_xor_b64 s[2:3], exec, s[0:1]
	s_cbranch_execz .LBB102_2
; %bb.1:
	s_ashr_i32 s22, s21, 31
	s_add_u32 s0, s20, s22
	s_mov_b32 s23, s22
	s_addc_u32 s1, s21, s22
	s_xor_b64 s[24:25], s[0:1], s[22:23]
	v_cvt_f32_u32_e32 v0, s24
	v_cvt_f32_u32_e32 v4, s25
	s_sub_u32 s0, 0, s24
	s_subb_u32 s1, 0, s25
	v_fmamk_f32 v0, v4, 0x4f800000, v0
	v_rcp_f32_e32 v0, v0
	s_nop 0
	v_mul_f32_e32 v0, 0x5f7ffffc, v0
	v_mul_f32_e32 v4, 0x2f800000, v0
	v_trunc_f32_e32 v4, v4
	v_fmamk_f32 v0, v4, 0xcf800000, v0
	v_cvt_u32_f32_e32 v6, v4
	v_cvt_u32_f32_e32 v7, v0
	v_mul_lo_u32 v0, s0, v6
	v_mul_hi_u32 v5, s0, v7
	v_mul_lo_u32 v4, s1, v7
	v_add_u32_e32 v0, v5, v0
	v_mul_lo_u32 v8, s0, v7
	v_add_u32_e32 v9, v0, v4
	v_mul_hi_u32 v5, v7, v9
	v_mul_lo_u32 v4, v7, v9
	v_mul_hi_u32 v0, v7, v8
	v_lshl_add_u64 v[4:5], v[0:1], 0, v[4:5]
	v_mul_hi_u32 v0, v6, v8
	v_mul_lo_u32 v8, v6, v8
	v_add_co_u32_e32 v4, vcc, v4, v8
	v_mul_hi_u32 v10, v6, v9
	s_nop 0
	v_addc_co_u32_e32 v0, vcc, v5, v0, vcc
	v_mul_lo_u32 v4, v6, v9
	s_nop 0
	v_addc_co_u32_e32 v5, vcc, 0, v10, vcc
	v_lshl_add_u64 v[4:5], v[0:1], 0, v[4:5]
	v_add_co_u32_e32 v7, vcc, v7, v4
	v_mul_hi_u32 v4, s0, v7
	s_nop 0
	v_addc_co_u32_e32 v6, vcc, v6, v5, vcc
	v_mul_lo_u32 v0, s0, v6
	v_add_u32_e32 v0, v4, v0
	v_mul_lo_u32 v4, s1, v7
	v_add_u32_e32 v8, v0, v4
	v_mul_lo_u32 v0, s0, v7
	v_mul_hi_u32 v10, v6, v0
	v_mul_lo_u32 v11, v6, v0
	v_mul_hi_u32 v5, v7, v8
	;; [unrolled: 2-line block ×3, first 2 shown]
	v_lshl_add_u64 v[4:5], v[0:1], 0, v[4:5]
	v_add_co_u32_e32 v0, vcc, v4, v11
	v_mul_hi_u32 v9, v6, v8
	s_nop 0
	v_addc_co_u32_e32 v0, vcc, v5, v10, vcc
	v_mul_lo_u32 v4, v6, v8
	s_nop 0
	v_addc_co_u32_e32 v5, vcc, 0, v9, vcc
	v_lshl_add_u64 v[4:5], v[0:1], 0, v[4:5]
	v_add_co_u32_e32 v10, vcc, v7, v4
	v_ashrrev_i32_e32 v4, 31, v3
	s_nop 0
	v_addc_co_u32_e32 v8, vcc, v6, v5, vcc
	v_mov_b32_e32 v5, v4
	v_lshl_add_u64 v[6:7], v[2:3], 0, v[4:5]
	v_xor_b32_e32 v12, v6, v4
	v_xor_b32_e32 v5, v7, v4
	v_mad_u64_u32 v[6:7], s[0:1], v12, v8, 0
	v_mul_hi_u32 v0, v12, v10
	v_lshl_add_u64 v[6:7], v[0:1], 0, v[6:7]
	v_mad_u64_u32 v[10:11], s[0:1], v5, v10, 0
	v_add_co_u32_e32 v0, vcc, v6, v10
	v_mad_u64_u32 v[8:9], s[0:1], v5, v8, 0
	s_nop 0
	v_addc_co_u32_e32 v0, vcc, v7, v11, vcc
	s_nop 1
	v_addc_co_u32_e32 v9, vcc, 0, v9, vcc
	v_lshl_add_u64 v[0:1], v[0:1], 0, v[8:9]
	v_mul_lo_u32 v8, s25, v0
	v_mul_lo_u32 v9, s24, v1
	v_mad_u64_u32 v[6:7], s[0:1], s24, v0, 0
	v_add3_u32 v10, v7, v9, v8
	v_sub_u32_e32 v7, v5, v10
	v_mov_b32_e32 v8, s25
	v_sub_co_u32_e32 v11, vcc, v12, v6
	s_nop 1
	v_subb_co_u32_e64 v6, s[0:1], v7, v8, vcc
	v_subrev_co_u32_e64 v7, s[0:1], s24, v11
	v_subb_co_u32_e32 v5, vcc, v5, v10, vcc
	s_nop 0
	v_subbrev_co_u32_e64 v6, s[0:1], 0, v6, s[0:1]
	v_cmp_le_u32_e64 s[0:1], s25, v6
	v_cmp_le_u32_e32 vcc, s25, v5
	s_nop 0
	v_cndmask_b32_e64 v8, 0, -1, s[0:1]
	v_cmp_le_u32_e64 s[0:1], s24, v7
	s_nop 1
	v_cndmask_b32_e64 v7, 0, -1, s[0:1]
	v_cmp_eq_u32_e64 s[0:1], s25, v6
	s_nop 1
	v_cndmask_b32_e64 v12, v8, v7, s[0:1]
	v_lshl_add_u64 v[6:7], v[0:1], 0, 2
	v_lshl_add_u64 v[8:9], v[0:1], 0, 1
	v_cmp_ne_u32_e64 s[0:1], 0, v12
	s_nop 1
	v_cndmask_b32_e64 v7, v9, v7, s[0:1]
	v_cndmask_b32_e64 v9, 0, -1, vcc
	v_cmp_le_u32_e32 vcc, s24, v11
	s_nop 1
	v_cndmask_b32_e64 v10, 0, -1, vcc
	v_cmp_eq_u32_e32 vcc, s25, v5
	s_nop 1
	v_cndmask_b32_e32 v5, v9, v10, vcc
	v_cmp_ne_u32_e32 vcc, 0, v5
	v_cndmask_b32_e64 v5, v8, v6, s[0:1]
	s_nop 0
	v_cndmask_b32_e32 v0, v0, v5, vcc
	v_xor_b32_e32 v5, s22, v4
	v_cndmask_b32_e32 v1, v1, v7, vcc
	v_xor_b32_e32 v0, v0, v5
	v_xor_b32_e32 v1, v1, v5
	v_sub_co_u32_e32 v4, vcc, v0, v5
	s_nop 1
	v_subb_co_u32_e32 v5, vcc, v1, v5, vcc
.LBB102_2:
	s_or_saveexec_b64 s[0:1], s[2:3]
	s_load_dwordx2 s[2:3], s[16:17], 0x0
	s_xor_b64 exec, exec, s[0:1]
	s_cbranch_execz .LBB102_4
; %bb.3:
	v_cvt_f32_u32_e32 v0, s20
	s_sub_i32 s16, 0, s20
	v_rcp_iflag_f32_e32 v0, v0
	s_nop 0
	v_mul_f32_e32 v0, 0x4f7ffffe, v0
	v_cvt_u32_f32_e32 v0, v0
	v_mul_lo_u32 v1, s16, v0
	v_mul_hi_u32 v1, v0, v1
	v_add_u32_e32 v0, v0, v1
	v_mul_hi_u32 v0, v2, v0
	v_mul_lo_u32 v1, v0, s20
	v_sub_u32_e32 v1, v2, v1
	v_add_u32_e32 v4, 1, v0
	v_subrev_u32_e32 v5, s20, v1
	v_cmp_le_u32_e32 vcc, s20, v1
	s_nop 1
	v_cndmask_b32_e32 v1, v1, v5, vcc
	v_cndmask_b32_e32 v0, v0, v4, vcc
	v_add_u32_e32 v4, 1, v0
	v_cmp_le_u32_e32 vcc, s20, v1
	v_mov_b32_e32 v5, 0
	s_nop 0
	v_cndmask_b32_e32 v4, v0, v4, vcc
.LBB102_4:
	s_or_b64 exec, exec, s[0:1]
	v_mul_lo_u32 v6, v5, s20
	v_mul_lo_u32 v7, v4, s21
	v_mad_u64_u32 v[0:1], s[0:1], v4, s20, 0
	v_add3_u32 v1, v1, v7, v6
	v_sub_co_u32_e32 v0, vcc, v2, v0
	s_waitcnt lgkmcnt(0)
	v_cmp_gt_i64_e64 s[0:1], s[2:3], v[4:5]
	v_subb_co_u32_e32 v1, vcc, v3, v1, vcc
	v_cmp_gt_i64_e32 vcc, s[12:13], v[0:1]
	s_and_b64 s[0:1], vcc, s[0:1]
	s_and_saveexec_b64 s[16:17], s[0:1]
	s_cbranch_execz .LBB102_15
; %bb.5:
	v_mov_b32_e32 v2, s14
	v_mov_b32_e32 v3, s15
	v_lshl_add_u64 v[8:9], v[4:5], 3, v[2:3]
	global_load_dwordx2 v[2:3], v[8:9], off
	s_add_u32 s0, s2, -1
	s_addc_u32 s1, s3, -1
	v_cmp_ne_u64_e32 vcc, s[0:1], v[4:5]
	v_mov_b64_e32 v[6:7], s[10:11]
	s_and_saveexec_b64 s[0:1], vcc
	s_cbranch_execz .LBB102_7
; %bb.6:
	global_load_dwordx2 v[6:7], v[8:9], off offset:8
.LBB102_7:
	s_or_b64 exec, exec, s[0:1]
	s_waitcnt vmcnt(0)
	v_cmp_lt_i32_e32 vcc, v2, v6
	v_mov_b64_e32 v[8:9], 0
	s_and_saveexec_b64 s[2:3], vcc
	s_cbranch_execz .LBB102_14
; %bb.8:
	s_cmp_lg_u64 s[8:9], 0
	v_mov_b32_e32 v8, s6
	v_mov_b32_e32 v9, s7
	v_ashrrev_i32_e32 v3, 31, v2
	s_cselect_b64 s[0:1], -1, 0
	v_lshl_add_u64 v[10:11], v[0:1], 3, v[8:9]
	v_lshlrev_b64 v[8:9], 3, v[2:3]
	v_cndmask_b32_e64 v3, 0, 1, s[0:1]
	s_mov_b64 s[6:7], 0
	v_lshl_add_u64 v[12:13], s[4:5], 0, v[8:9]
	v_lshl_add_u64 v[14:15], s[8:9], 0, v[8:9]
	v_mov_b64_e32 v[8:9], 0
	v_cmp_ne_u32_e64 s[0:1], 1, v3
	s_branch .LBB102_11
.LBB102_9:                              ;   in Loop: Header=BB102_11 Depth=1
	global_load_dwordx2 v[18:19], v[14:15], off
	s_waitcnt vmcnt(0)
	v_cvt_f64_i32_e32 v[20:21], v19
	v_cvt_f64_u32_e32 v[18:19], v18
	v_ldexp_f64 v[20:21], v[20:21], 32
	v_add_f64 v[18:19], v[20:21], v[18:19]
	v_div_scale_f64 v[20:21], s[4:5], v[18:19], v[18:19], 1.0
	v_rcp_f64_e32 v[22:23], v[20:21]
	v_div_scale_f64 v[24:25], vcc, 1.0, v[18:19], 1.0
	v_fma_f64 v[26:27], -v[20:21], v[22:23], 1.0
	v_fmac_f64_e32 v[22:23], v[22:23], v[26:27]
	v_fma_f64 v[26:27], -v[20:21], v[22:23], 1.0
	v_fmac_f64_e32 v[22:23], v[22:23], v[26:27]
	v_mul_f64 v[26:27], v[24:25], v[22:23]
	v_fma_f64 v[20:21], -v[20:21], v[26:27], v[24:25]
	v_div_fmas_f64 v[20:21], v[20:21], v[22:23], v[26:27]
	v_div_fixup_f64 v[18:19], v[20:21], v[18:19], 1.0
.LBB102_10:                             ;   in Loop: Header=BB102_11 Depth=1
	s_waitcnt vmcnt(0)
	v_mul_lo_u32 v3, v17, s12
	v_mul_lo_u32 v7, v16, s13
	v_mad_u64_u32 v[16:17], s[4:5], v16, s12, 0
	v_add3_u32 v17, v17, v7, v3
	v_lshl_add_u64 v[16:17], v[16:17], 3, v[10:11]
	global_load_dwordx2 v[16:17], v[16:17], off
	v_add_u32_e32 v2, 1, v2
	v_cmp_ge_i32_e32 vcc, v2, v6
	v_lshl_add_u64 v[12:13], v[12:13], 0, 8
	s_or_b64 s[6:7], vcc, s[6:7]
	v_lshl_add_u64 v[14:15], v[14:15], 0, 8
	s_waitcnt vmcnt(0)
	v_fmac_f64_e32 v[8:9], v[18:19], v[16:17]
	s_andn2_b64 exec, exec, s[6:7]
	s_cbranch_execz .LBB102_13
.LBB102_11:                             ; =>This Inner Loop Header: Depth=1
	global_load_dwordx2 v[16:17], v[12:13], off
	s_and_b64 vcc, exec, s[0:1]
	s_cbranch_vccz .LBB102_9
; %bb.12:                               ;   in Loop: Header=BB102_11 Depth=1
	v_mov_b64_e32 v[18:19], 1.0
	s_branch .LBB102_10
.LBB102_13:
	s_or_b64 exec, exec, s[6:7]
.LBB102_14:
	s_or_b64 exec, exec, s[2:3]
	v_mul_lo_u32 v6, v5, s12
	v_mul_lo_u32 v7, v4, s13
	v_mad_u64_u32 v[4:5], s[0:1], v4, s12, 0
	v_mov_b32_e32 v2, s18
	v_mov_b32_e32 v3, s19
	v_add3_u32 v5, v5, v7, v6
	v_lshl_add_u64 v[2:3], v[4:5], 3, v[2:3]
	v_lshl_add_u64 v[0:1], v[0:1], 3, v[2:3]
	global_store_dwordx2 v[0:1], v[8:9], off
.LBB102_15:
	s_endpgm
	.section	.rodata,"a",@progbits
	.p2align	6, 0x0
	.amdhsa_kernel _ZN2at6native12_GLOBAL__N_119compute_grad_weightIdlEEvPKT0_PKT_S5_llS5_PKlPNS_14AccumulateTypeIS6_Lb1EE4typeEl
		.amdhsa_group_segment_fixed_size 0
		.amdhsa_private_segment_fixed_size 0
		.amdhsa_kernarg_size 328
		.amdhsa_user_sgpr_count 2
		.amdhsa_user_sgpr_dispatch_ptr 0
		.amdhsa_user_sgpr_queue_ptr 0
		.amdhsa_user_sgpr_kernarg_segment_ptr 1
		.amdhsa_user_sgpr_dispatch_id 0
		.amdhsa_user_sgpr_kernarg_preload_length 0
		.amdhsa_user_sgpr_kernarg_preload_offset 0
		.amdhsa_user_sgpr_private_segment_size 0
		.amdhsa_uses_dynamic_stack 0
		.amdhsa_enable_private_segment 0
		.amdhsa_system_sgpr_workgroup_id_x 1
		.amdhsa_system_sgpr_workgroup_id_y 0
		.amdhsa_system_sgpr_workgroup_id_z 0
		.amdhsa_system_sgpr_workgroup_info 0
		.amdhsa_system_vgpr_workitem_id 0
		.amdhsa_next_free_vgpr 28
		.amdhsa_next_free_sgpr 26
		.amdhsa_accum_offset 28
		.amdhsa_reserve_vcc 1
		.amdhsa_float_round_mode_32 0
		.amdhsa_float_round_mode_16_64 0
		.amdhsa_float_denorm_mode_32 3
		.amdhsa_float_denorm_mode_16_64 3
		.amdhsa_dx10_clamp 1
		.amdhsa_ieee_mode 1
		.amdhsa_fp16_overflow 0
		.amdhsa_tg_split 0
		.amdhsa_exception_fp_ieee_invalid_op 0
		.amdhsa_exception_fp_denorm_src 0
		.amdhsa_exception_fp_ieee_div_zero 0
		.amdhsa_exception_fp_ieee_overflow 0
		.amdhsa_exception_fp_ieee_underflow 0
		.amdhsa_exception_fp_ieee_inexact 0
		.amdhsa_exception_int_div_zero 0
	.end_amdhsa_kernel
	.section	.text._ZN2at6native12_GLOBAL__N_119compute_grad_weightIdlEEvPKT0_PKT_S5_llS5_PKlPNS_14AccumulateTypeIS6_Lb1EE4typeEl,"axG",@progbits,_ZN2at6native12_GLOBAL__N_119compute_grad_weightIdlEEvPKT0_PKT_S5_llS5_PKlPNS_14AccumulateTypeIS6_Lb1EE4typeEl,comdat
.Lfunc_end102:
	.size	_ZN2at6native12_GLOBAL__N_119compute_grad_weightIdlEEvPKT0_PKT_S5_llS5_PKlPNS_14AccumulateTypeIS6_Lb1EE4typeEl, .Lfunc_end102-_ZN2at6native12_GLOBAL__N_119compute_grad_weightIdlEEvPKT0_PKT_S5_llS5_PKlPNS_14AccumulateTypeIS6_Lb1EE4typeEl
                                        ; -- End function
	.section	.AMDGPU.csdata,"",@progbits
; Kernel info:
; codeLenInByte = 1480
; NumSgprs: 32
; NumVgprs: 28
; NumAgprs: 0
; TotalNumVgprs: 28
; ScratchSize: 0
; MemoryBound: 0
; FloatMode: 240
; IeeeMode: 1
; LDSByteSize: 0 bytes/workgroup (compile time only)
; SGPRBlocks: 3
; VGPRBlocks: 3
; NumSGPRsForWavesPerEU: 32
; NumVGPRsForWavesPerEU: 28
; AccumOffset: 28
; Occupancy: 8
; WaveLimiterHint : 1
; COMPUTE_PGM_RSRC2:SCRATCH_EN: 0
; COMPUTE_PGM_RSRC2:USER_SGPR: 2
; COMPUTE_PGM_RSRC2:TRAP_HANDLER: 0
; COMPUTE_PGM_RSRC2:TGID_X_EN: 1
; COMPUTE_PGM_RSRC2:TGID_Y_EN: 0
; COMPUTE_PGM_RSRC2:TGID_Z_EN: 0
; COMPUTE_PGM_RSRC2:TIDIG_COMP_CNT: 0
; COMPUTE_PGM_RSRC3_GFX90A:ACCUM_OFFSET: 6
; COMPUTE_PGM_RSRC3_GFX90A:TG_SPLIT: 0
	.section	.text._ZN2at6native12_GLOBAL__N_115sum_and_scatterIdlEEvPKT0_PT_lS5_PKlPKNS_14AccumulateTypeIS6_Lb1EE4typeES5_S9_ll,"axG",@progbits,_ZN2at6native12_GLOBAL__N_115sum_and_scatterIdlEEvPKT0_PT_lS5_PKlPKNS_14AccumulateTypeIS6_Lb1EE4typeES5_S9_ll,comdat
	.globl	_ZN2at6native12_GLOBAL__N_115sum_and_scatterIdlEEvPKT0_PT_lS5_PKlPKNS_14AccumulateTypeIS6_Lb1EE4typeES5_S9_ll ; -- Begin function _ZN2at6native12_GLOBAL__N_115sum_and_scatterIdlEEvPKT0_PT_lS5_PKlPKNS_14AccumulateTypeIS6_Lb1EE4typeES5_S9_ll
	.p2align	8
	.type	_ZN2at6native12_GLOBAL__N_115sum_and_scatterIdlEEvPKT0_PT_lS5_PKlPKNS_14AccumulateTypeIS6_Lb1EE4typeES5_S9_ll,@function
_ZN2at6native12_GLOBAL__N_115sum_and_scatterIdlEEvPKT0_PT_lS5_PKlPKNS_14AccumulateTypeIS6_Lb1EE4typeES5_S9_ll: ; @_ZN2at6native12_GLOBAL__N_115sum_and_scatterIdlEEvPKT0_PT_lS5_PKlPKNS_14AccumulateTypeIS6_Lb1EE4typeES5_S9_ll
; %bb.0:
	s_load_dword s3, s[0:1], 0x5c
	s_load_dwordx4 s[20:23], s[0:1], 0x40
	s_load_dwordx16 s[4:19], s[0:1], 0x0
	v_mov_b32_e32 v1, 0
	v_mov_b32_e32 v2, s2
	s_waitcnt lgkmcnt(0)
	s_and_b32 s0, s3, 0xffff
	v_mad_u64_u32 v[2:3], s[0:1], s0, v2, v[0:1]
	v_or_b32_e32 v5, s23, v3
	v_mov_b32_e32 v4, v1
	v_cmp_ne_u64_e32 vcc, 0, v[4:5]
                                        ; implicit-def: $vgpr4_vgpr5
	s_and_saveexec_b64 s[0:1], vcc
	s_xor_b64 s[2:3], exec, s[0:1]
	s_cbranch_execz .LBB103_2
; %bb.1:
	s_ashr_i32 s24, s23, 31
	s_add_u32 s0, s22, s24
	s_mov_b32 s25, s24
	s_addc_u32 s1, s23, s24
	s_xor_b64 s[26:27], s[0:1], s[24:25]
	v_cvt_f32_u32_e32 v0, s26
	v_cvt_f32_u32_e32 v4, s27
	s_sub_u32 s0, 0, s26
	s_subb_u32 s1, 0, s27
	v_fmamk_f32 v0, v4, 0x4f800000, v0
	v_rcp_f32_e32 v0, v0
	s_nop 0
	v_mul_f32_e32 v0, 0x5f7ffffc, v0
	v_mul_f32_e32 v4, 0x2f800000, v0
	v_trunc_f32_e32 v4, v4
	v_fmamk_f32 v0, v4, 0xcf800000, v0
	v_cvt_u32_f32_e32 v6, v4
	v_cvt_u32_f32_e32 v7, v0
	v_mul_lo_u32 v0, s0, v6
	v_mul_hi_u32 v5, s0, v7
	v_mul_lo_u32 v4, s1, v7
	v_add_u32_e32 v0, v5, v0
	v_mul_lo_u32 v8, s0, v7
	v_add_u32_e32 v9, v0, v4
	v_mul_hi_u32 v5, v7, v9
	v_mul_lo_u32 v4, v7, v9
	v_mul_hi_u32 v0, v7, v8
	v_lshl_add_u64 v[4:5], v[0:1], 0, v[4:5]
	v_mul_hi_u32 v0, v6, v8
	v_mul_lo_u32 v8, v6, v8
	v_add_co_u32_e32 v4, vcc, v4, v8
	v_mul_hi_u32 v10, v6, v9
	s_nop 0
	v_addc_co_u32_e32 v0, vcc, v5, v0, vcc
	v_mul_lo_u32 v4, v6, v9
	s_nop 0
	v_addc_co_u32_e32 v5, vcc, 0, v10, vcc
	v_lshl_add_u64 v[4:5], v[0:1], 0, v[4:5]
	v_add_co_u32_e32 v7, vcc, v7, v4
	v_mul_hi_u32 v4, s0, v7
	s_nop 0
	v_addc_co_u32_e32 v6, vcc, v6, v5, vcc
	v_mul_lo_u32 v0, s0, v6
	v_add_u32_e32 v0, v4, v0
	v_mul_lo_u32 v4, s1, v7
	v_add_u32_e32 v8, v0, v4
	v_mul_lo_u32 v0, s0, v7
	v_mul_hi_u32 v10, v6, v0
	v_mul_lo_u32 v11, v6, v0
	v_mul_hi_u32 v5, v7, v8
	;; [unrolled: 2-line block ×3, first 2 shown]
	v_lshl_add_u64 v[4:5], v[0:1], 0, v[4:5]
	v_add_co_u32_e32 v0, vcc, v4, v11
	v_mul_hi_u32 v9, v6, v8
	s_nop 0
	v_addc_co_u32_e32 v0, vcc, v5, v10, vcc
	v_mul_lo_u32 v4, v6, v8
	s_nop 0
	v_addc_co_u32_e32 v5, vcc, 0, v9, vcc
	v_lshl_add_u64 v[4:5], v[0:1], 0, v[4:5]
	v_add_co_u32_e32 v10, vcc, v7, v4
	v_ashrrev_i32_e32 v4, 31, v3
	s_nop 0
	v_addc_co_u32_e32 v8, vcc, v6, v5, vcc
	v_mov_b32_e32 v5, v4
	v_lshl_add_u64 v[6:7], v[2:3], 0, v[4:5]
	v_xor_b32_e32 v12, v6, v4
	v_xor_b32_e32 v5, v7, v4
	v_mad_u64_u32 v[6:7], s[0:1], v12, v8, 0
	v_mul_hi_u32 v0, v12, v10
	v_lshl_add_u64 v[6:7], v[0:1], 0, v[6:7]
	v_mad_u64_u32 v[10:11], s[0:1], v5, v10, 0
	v_add_co_u32_e32 v0, vcc, v6, v10
	v_mad_u64_u32 v[8:9], s[0:1], v5, v8, 0
	s_nop 0
	v_addc_co_u32_e32 v0, vcc, v7, v11, vcc
	s_nop 1
	v_addc_co_u32_e32 v9, vcc, 0, v9, vcc
	v_lshl_add_u64 v[0:1], v[0:1], 0, v[8:9]
	v_mul_lo_u32 v8, s27, v0
	v_mul_lo_u32 v9, s26, v1
	v_mad_u64_u32 v[6:7], s[0:1], s26, v0, 0
	v_add3_u32 v10, v7, v9, v8
	v_sub_u32_e32 v7, v5, v10
	v_mov_b32_e32 v8, s27
	v_sub_co_u32_e32 v11, vcc, v12, v6
	s_nop 1
	v_subb_co_u32_e64 v6, s[0:1], v7, v8, vcc
	v_subrev_co_u32_e64 v7, s[0:1], s26, v11
	v_subb_co_u32_e32 v5, vcc, v5, v10, vcc
	s_nop 0
	v_subbrev_co_u32_e64 v6, s[0:1], 0, v6, s[0:1]
	v_cmp_le_u32_e64 s[0:1], s27, v6
	v_cmp_le_u32_e32 vcc, s27, v5
	s_nop 0
	v_cndmask_b32_e64 v8, 0, -1, s[0:1]
	v_cmp_le_u32_e64 s[0:1], s26, v7
	s_nop 1
	v_cndmask_b32_e64 v7, 0, -1, s[0:1]
	v_cmp_eq_u32_e64 s[0:1], s27, v6
	s_nop 1
	v_cndmask_b32_e64 v12, v8, v7, s[0:1]
	v_lshl_add_u64 v[6:7], v[0:1], 0, 2
	v_lshl_add_u64 v[8:9], v[0:1], 0, 1
	v_cmp_ne_u32_e64 s[0:1], 0, v12
	s_nop 1
	v_cndmask_b32_e64 v7, v9, v7, s[0:1]
	v_cndmask_b32_e64 v9, 0, -1, vcc
	v_cmp_le_u32_e32 vcc, s26, v11
	s_nop 1
	v_cndmask_b32_e64 v10, 0, -1, vcc
	v_cmp_eq_u32_e32 vcc, s27, v5
	s_nop 1
	v_cndmask_b32_e32 v5, v9, v10, vcc
	v_cmp_ne_u32_e32 vcc, 0, v5
	v_cndmask_b32_e64 v5, v8, v6, s[0:1]
	s_nop 0
	v_cndmask_b32_e32 v0, v0, v5, vcc
	v_xor_b32_e32 v5, s24, v4
	v_cndmask_b32_e32 v1, v1, v7, vcc
	v_xor_b32_e32 v0, v0, v5
	v_xor_b32_e32 v1, v1, v5
	v_sub_co_u32_e32 v4, vcc, v0, v5
	s_nop 1
	v_subb_co_u32_e32 v5, vcc, v1, v5, vcc
.LBB103_2:
	s_or_saveexec_b64 s[0:1], s[2:3]
	s_load_dwordx2 s[2:3], s[12:13], 0x0
	s_xor_b64 exec, exec, s[0:1]
	s_cbranch_execz .LBB103_4
; %bb.3:
	v_cvt_f32_u32_e32 v0, s22
	s_sub_i32 s12, 0, s22
	v_rcp_iflag_f32_e32 v0, v0
	s_nop 0
	v_mul_f32_e32 v0, 0x4f7ffffe, v0
	v_cvt_u32_f32_e32 v0, v0
	v_mul_lo_u32 v1, s12, v0
	v_mul_hi_u32 v1, v0, v1
	v_add_u32_e32 v0, v0, v1
	v_mul_hi_u32 v0, v2, v0
	v_mul_lo_u32 v1, v0, s22
	v_sub_u32_e32 v1, v2, v1
	v_add_u32_e32 v4, 1, v0
	v_subrev_u32_e32 v5, s22, v1
	v_cmp_le_u32_e32 vcc, s22, v1
	s_nop 1
	v_cndmask_b32_e32 v1, v1, v5, vcc
	v_cndmask_b32_e32 v0, v0, v4, vcc
	v_add_u32_e32 v4, 1, v0
	v_cmp_le_u32_e32 vcc, s22, v1
	v_mov_b32_e32 v5, 0
	s_nop 0
	v_cndmask_b32_e32 v4, v0, v4, vcc
.LBB103_4:
	s_or_b64 exec, exec, s[0:1]
	v_mul_lo_u32 v0, v5, s22
	v_mul_lo_u32 v1, v4, s23
	v_mad_u64_u32 v[8:9], s[0:1], v4, s22, 0
	v_add3_u32 v9, v9, v1, v0
	v_sub_co_u32_e32 v0, vcc, v2, v8
	s_waitcnt lgkmcnt(0)
	v_cmp_gt_i64_e64 s[0:1], s[2:3], v[4:5]
	v_subb_co_u32_e32 v1, vcc, v3, v9, vcc
	v_cmp_gt_i64_e32 vcc, s[8:9], v[0:1]
	s_and_b64 s[0:1], vcc, s[0:1]
	s_and_saveexec_b64 s[12:13], s[0:1]
	s_cbranch_execz .LBB103_11
; %bb.5:
	v_mov_b32_e32 v6, s16
	v_mov_b32_e32 v7, s17
	s_add_u32 s0, s2, -1
	v_lshl_add_u64 v[6:7], v[4:5], 3, v[6:7]
	s_addc_u32 s1, s3, -1
	global_load_dword v10, v[6:7], off
	v_lshl_add_u64 v[6:7], v[6:7], 0, 8
	v_mov_b32_e32 v11, s19
	v_cmp_eq_u64_e32 vcc, s[0:1], v[4:5]
	s_nop 1
	v_cndmask_b32_e32 v7, v7, v11, vcc
	v_mov_b32_e32 v11, s18
	v_cndmask_b32_e32 v6, v6, v11, vcc
	global_load_dword v11, v[6:7], off
	v_mov_b64_e32 v[6:7], 0
	s_waitcnt vmcnt(0)
	v_cmp_lt_i32_e32 vcc, v10, v11
	s_and_saveexec_b64 s[0:1], vcc
	s_cbranch_execz .LBB103_9
; %bb.6:
	v_ashrrev_i32_e32 v6, 31, v10
	v_mul_lo_u32 v12, s9, v10
	v_mul_lo_u32 v13, s8, v6
	v_mad_u64_u32 v[6:7], s[2:3], s8, v10, 0
	v_add3_u32 v7, v7, v13, v12
	v_lshlrev_b64 v[2:3], 3, v[2:3]
	v_lshl_add_u64 v[2:3], v[6:7], 3, v[2:3]
	v_lshlrev_b64 v[6:7], 3, v[8:9]
	v_sub_co_u32_e32 v2, vcc, v2, v6
	s_lshl_b64 s[12:13], s[8:9], 3
	s_nop 0
	v_subb_co_u32_e32 v3, vcc, v3, v7, vcc
	v_lshl_add_u64 v[2:3], s[14:15], 0, v[2:3]
	s_mov_b64 s[2:3], 0
	v_mov_b64_e32 v[6:7], 0
.LBB103_7:                              ; =>This Inner Loop Header: Depth=1
	global_load_dwordx2 v[8:9], v[2:3], off
	v_add_u32_e32 v10, 1, v10
	v_cmp_ge_i32_e32 vcc, v10, v11
	v_lshl_add_u64 v[2:3], v[2:3], 0, s[12:13]
	s_or_b64 s[2:3], vcc, s[2:3]
	s_waitcnt vmcnt(0)
	v_add_f64 v[6:7], v[6:7], v[8:9]
	s_andn2_b64 exec, exec, s[2:3]
	s_cbranch_execnz .LBB103_7
; %bb.8:
	s_or_b64 exec, exec, s[2:3]
.LBB103_9:
	s_or_b64 exec, exec, s[0:1]
	v_mov_b32_e32 v2, s10
	v_mov_b32_e32 v3, s11
	v_lshl_add_u64 v[2:3], v[4:5], 3, v[2:3]
	global_load_dwordx2 v[2:3], v[2:3], off
	v_mov_b32_e32 v4, s4
	v_mov_b32_e32 v5, s5
	s_waitcnt vmcnt(0)
	v_lshl_add_u64 v[2:3], v[2:3], 3, v[4:5]
	global_load_dwordx2 v[2:3], v[2:3], off
	s_waitcnt vmcnt(0)
	v_cmp_ne_u64_e32 vcc, s[20:21], v[2:3]
	s_and_b64 exec, exec, vcc
	s_cbranch_execz .LBB103_11
; %bb.10:
	v_mul_lo_u32 v8, v3, s8
	v_mul_lo_u32 v9, v2, s9
	v_mad_u64_u32 v[2:3], s[0:1], v2, s8, 0
	v_mov_b32_e32 v4, s6
	v_mov_b32_e32 v5, s7
	v_add3_u32 v3, v3, v9, v8
	v_lshl_add_u64 v[2:3], v[2:3], 3, v[4:5]
	v_lshl_add_u64 v[0:1], v[0:1], 3, v[2:3]
	global_store_dwordx2 v[0:1], v[6:7], off
.LBB103_11:
	s_endpgm
	.section	.rodata,"a",@progbits
	.p2align	6, 0x0
	.amdhsa_kernel _ZN2at6native12_GLOBAL__N_115sum_and_scatterIdlEEvPKT0_PT_lS5_PKlPKNS_14AccumulateTypeIS6_Lb1EE4typeES5_S9_ll
		.amdhsa_group_segment_fixed_size 0
		.amdhsa_private_segment_fixed_size 0
		.amdhsa_kernarg_size 336
		.amdhsa_user_sgpr_count 2
		.amdhsa_user_sgpr_dispatch_ptr 0
		.amdhsa_user_sgpr_queue_ptr 0
		.amdhsa_user_sgpr_kernarg_segment_ptr 1
		.amdhsa_user_sgpr_dispatch_id 0
		.amdhsa_user_sgpr_kernarg_preload_length 0
		.amdhsa_user_sgpr_kernarg_preload_offset 0
		.amdhsa_user_sgpr_private_segment_size 0
		.amdhsa_uses_dynamic_stack 0
		.amdhsa_enable_private_segment 0
		.amdhsa_system_sgpr_workgroup_id_x 1
		.amdhsa_system_sgpr_workgroup_id_y 0
		.amdhsa_system_sgpr_workgroup_id_z 0
		.amdhsa_system_sgpr_workgroup_info 0
		.amdhsa_system_vgpr_workitem_id 0
		.amdhsa_next_free_vgpr 14
		.amdhsa_next_free_sgpr 28
		.amdhsa_accum_offset 16
		.amdhsa_reserve_vcc 1
		.amdhsa_float_round_mode_32 0
		.amdhsa_float_round_mode_16_64 0
		.amdhsa_float_denorm_mode_32 3
		.amdhsa_float_denorm_mode_16_64 3
		.amdhsa_dx10_clamp 1
		.amdhsa_ieee_mode 1
		.amdhsa_fp16_overflow 0
		.amdhsa_tg_split 0
		.amdhsa_exception_fp_ieee_invalid_op 0
		.amdhsa_exception_fp_denorm_src 0
		.amdhsa_exception_fp_ieee_div_zero 0
		.amdhsa_exception_fp_ieee_overflow 0
		.amdhsa_exception_fp_ieee_underflow 0
		.amdhsa_exception_fp_ieee_inexact 0
		.amdhsa_exception_int_div_zero 0
	.end_amdhsa_kernel
	.section	.text._ZN2at6native12_GLOBAL__N_115sum_and_scatterIdlEEvPKT0_PT_lS5_PKlPKNS_14AccumulateTypeIS6_Lb1EE4typeES5_S9_ll,"axG",@progbits,_ZN2at6native12_GLOBAL__N_115sum_and_scatterIdlEEvPKT0_PT_lS5_PKlPKNS_14AccumulateTypeIS6_Lb1EE4typeES5_S9_ll,comdat
.Lfunc_end103:
	.size	_ZN2at6native12_GLOBAL__N_115sum_and_scatterIdlEEvPKT0_PT_lS5_PKlPKNS_14AccumulateTypeIS6_Lb1EE4typeES5_S9_ll, .Lfunc_end103-_ZN2at6native12_GLOBAL__N_115sum_and_scatterIdlEEvPKT0_PT_lS5_PKlPKNS_14AccumulateTypeIS6_Lb1EE4typeES5_S9_ll
                                        ; -- End function
	.section	.AMDGPU.csdata,"",@progbits
; Kernel info:
; codeLenInByte = 1388
; NumSgprs: 34
; NumVgprs: 14
; NumAgprs: 0
; TotalNumVgprs: 14
; ScratchSize: 0
; MemoryBound: 0
; FloatMode: 240
; IeeeMode: 1
; LDSByteSize: 0 bytes/workgroup (compile time only)
; SGPRBlocks: 4
; VGPRBlocks: 1
; NumSGPRsForWavesPerEU: 34
; NumVGPRsForWavesPerEU: 14
; AccumOffset: 16
; Occupancy: 8
; WaveLimiterHint : 1
; COMPUTE_PGM_RSRC2:SCRATCH_EN: 0
; COMPUTE_PGM_RSRC2:USER_SGPR: 2
; COMPUTE_PGM_RSRC2:TRAP_HANDLER: 0
; COMPUTE_PGM_RSRC2:TGID_X_EN: 1
; COMPUTE_PGM_RSRC2:TGID_Y_EN: 0
; COMPUTE_PGM_RSRC2:TGID_Z_EN: 0
; COMPUTE_PGM_RSRC2:TIDIG_COMP_CNT: 0
; COMPUTE_PGM_RSRC3_GFX90A:ACCUM_OFFSET: 3
; COMPUTE_PGM_RSRC3_GFX90A:TG_SPLIT: 0
	.section	.text._ZN2at6native12_GLOBAL__N_137compute_grad_weight_atomic_accumulateIfflEEvPKT1_PKT_S5_llS5_PKlS5_S5_S5_PT0_ll,"axG",@progbits,_ZN2at6native12_GLOBAL__N_137compute_grad_weight_atomic_accumulateIfflEEvPKT1_PKT_S5_llS5_PKlS5_S5_S5_PT0_ll,comdat
	.globl	_ZN2at6native12_GLOBAL__N_137compute_grad_weight_atomic_accumulateIfflEEvPKT1_PKT_S5_llS5_PKlS5_S5_S5_PT0_ll ; -- Begin function _ZN2at6native12_GLOBAL__N_137compute_grad_weight_atomic_accumulateIfflEEvPKT1_PKT_S5_llS5_PKlS5_S5_S5_PT0_ll
	.p2align	8
	.type	_ZN2at6native12_GLOBAL__N_137compute_grad_weight_atomic_accumulateIfflEEvPKT1_PKT_S5_llS5_PKlS5_S5_S5_PT0_ll,@function
_ZN2at6native12_GLOBAL__N_137compute_grad_weight_atomic_accumulateIfflEEvPKT1_PKT_S5_llS5_PKlS5_S5_S5_PT0_ll: ; @_ZN2at6native12_GLOBAL__N_137compute_grad_weight_atomic_accumulateIfflEEvPKT1_PKT_S5_llS5_PKlS5_S5_S5_PT0_ll
; %bb.0:
	s_load_dword s3, s[0:1], 0x74
	s_load_dwordx2 s[20:21], s[0:1], 0x60
	v_mov_b32_e32 v4, 0
	s_waitcnt lgkmcnt(0)
	s_and_b32 s3, s3, 0xffff
	s_mul_i32 s2, s2, s3
	v_add_u32_e32 v2, s2, v0
	v_ashrrev_i32_e32 v3, 31, v2
	v_or_b32_e32 v5, s21, v3
	v_cmp_ne_u64_e32 vcc, 0, v[4:5]
                                        ; implicit-def: $vgpr0_vgpr1
	s_and_saveexec_b64 s[2:3], vcc
	s_xor_b64 s[4:5], exec, s[2:3]
	s_cbranch_execz .LBB104_2
; %bb.1:
	s_ashr_i32 s6, s21, 31
	s_add_u32 s2, s20, s6
	s_mov_b32 s7, s6
	s_addc_u32 s3, s21, s6
	s_xor_b64 s[8:9], s[2:3], s[6:7]
	v_cvt_f32_u32_e32 v0, s8
	v_cvt_f32_u32_e32 v1, s9
	s_sub_u32 s2, 0, s8
	s_subb_u32 s3, 0, s9
	v_mov_b32_e32 v7, v4
	v_fmamk_f32 v0, v1, 0x4f800000, v0
	v_rcp_f32_e32 v0, v0
	s_nop 0
	v_mul_f32_e32 v0, 0x5f7ffffc, v0
	v_mul_f32_e32 v1, 0x2f800000, v0
	v_trunc_f32_e32 v1, v1
	v_fmamk_f32 v0, v1, 0xcf800000, v0
	v_cvt_u32_f32_e32 v5, v1
	v_cvt_u32_f32_e32 v8, v0
	v_mul_lo_u32 v0, s2, v5
	v_mul_hi_u32 v6, s2, v8
	v_mul_lo_u32 v1, s3, v8
	v_add_u32_e32 v0, v6, v0
	v_mul_lo_u32 v9, s2, v8
	v_add_u32_e32 v10, v0, v1
	v_mul_hi_u32 v1, v8, v10
	v_mul_lo_u32 v0, v8, v10
	v_mul_hi_u32 v6, v8, v9
	v_lshl_add_u64 v[0:1], v[6:7], 0, v[0:1]
	v_mul_hi_u32 v7, v5, v9
	v_mul_lo_u32 v9, v5, v9
	v_add_co_u32_e32 v0, vcc, v0, v9
	v_mul_hi_u32 v6, v5, v10
	s_nop 0
	v_addc_co_u32_e32 v0, vcc, v1, v7, vcc
	v_mov_b32_e32 v1, v4
	s_nop 0
	v_addc_co_u32_e32 v7, vcc, 0, v6, vcc
	v_mul_lo_u32 v6, v5, v10
	v_lshl_add_u64 v[0:1], v[0:1], 0, v[6:7]
	v_add_co_u32_e32 v8, vcc, v8, v0
	v_mul_lo_u32 v6, s2, v8
	s_nop 0
	v_addc_co_u32_e32 v5, vcc, v5, v1, vcc
	v_mul_lo_u32 v0, s2, v5
	v_mul_hi_u32 v1, s2, v8
	v_add_u32_e32 v0, v1, v0
	v_mul_lo_u32 v1, s3, v8
	v_add_u32_e32 v9, v0, v1
	v_mul_hi_u32 v11, v5, v6
	v_mul_lo_u32 v12, v5, v6
	v_mul_hi_u32 v1, v8, v9
	v_mul_lo_u32 v0, v8, v9
	v_mul_hi_u32 v6, v8, v6
	v_mov_b32_e32 v7, v4
	v_lshl_add_u64 v[0:1], v[6:7], 0, v[0:1]
	v_add_co_u32_e32 v0, vcc, v0, v12
	v_mul_hi_u32 v10, v5, v9
	s_nop 0
	v_addc_co_u32_e32 v0, vcc, v1, v11, vcc
	v_mul_lo_u32 v6, v5, v9
	s_nop 0
	v_addc_co_u32_e32 v7, vcc, 0, v10, vcc
	v_mov_b32_e32 v1, v4
	v_lshl_add_u64 v[0:1], v[0:1], 0, v[6:7]
	v_add_co_u32_e32 v10, vcc, v8, v0
	v_mov_b32_e32 v0, v3
	s_nop 0
	v_addc_co_u32_e32 v5, vcc, v5, v1, vcc
	v_mov_b32_e32 v1, v3
	v_lshl_add_u64 v[6:7], v[2:3], 0, v[0:1]
	v_xor_b32_e32 v13, v6, v0
	v_xor_b32_e32 v12, v7, v1
	v_mad_u64_u32 v[6:7], s[2:3], v13, v5, 0
	v_mul_hi_u32 v8, v13, v10
	v_mov_b32_e32 v9, v4
	v_lshl_add_u64 v[6:7], v[8:9], 0, v[6:7]
	v_mad_u64_u32 v[10:11], s[2:3], v12, v10, 0
	v_mad_u64_u32 v[8:9], s[2:3], v12, v5, 0
	v_add_co_u32_e32 v5, vcc, v6, v10
	v_xor_b32_e32 v0, s6, v0
	s_nop 0
	v_addc_co_u32_e32 v6, vcc, v7, v11, vcc
	v_mov_b32_e32 v7, v4
	s_nop 0
	v_addc_co_u32_e32 v9, vcc, 0, v9, vcc
	v_lshl_add_u64 v[4:5], v[6:7], 0, v[8:9]
	v_mul_lo_u32 v8, s9, v4
	v_mul_lo_u32 v9, s8, v5
	v_mad_u64_u32 v[6:7], s[2:3], s8, v4, 0
	v_add3_u32 v10, v7, v9, v8
	v_sub_u32_e32 v7, v12, v10
	v_mov_b32_e32 v8, s9
	v_sub_co_u32_e32 v11, vcc, v13, v6
	v_xor_b32_e32 v1, s6, v1
	s_nop 0
	v_subb_co_u32_e64 v6, s[2:3], v7, v8, vcc
	v_subrev_co_u32_e64 v7, s[2:3], s8, v11
	s_nop 1
	v_subbrev_co_u32_e64 v6, s[2:3], 0, v6, s[2:3]
	v_cmp_le_u32_e64 s[2:3], s9, v6
	s_nop 1
	v_cndmask_b32_e64 v8, 0, -1, s[2:3]
	v_cmp_le_u32_e64 s[2:3], s8, v7
	s_nop 1
	v_cndmask_b32_e64 v7, 0, -1, s[2:3]
	v_cmp_eq_u32_e64 s[2:3], s9, v6
	s_nop 1
	v_cndmask_b32_e64 v13, v8, v7, s[2:3]
	v_lshl_add_u64 v[6:7], v[4:5], 0, 2
	v_lshl_add_u64 v[8:9], v[4:5], 0, 1
	v_cmp_ne_u32_e64 s[2:3], 0, v13
	s_nop 1
	v_cndmask_b32_e64 v7, v9, v7, s[2:3]
	v_subb_co_u32_e32 v9, vcc, v12, v10, vcc
	v_cmp_le_u32_e32 vcc, s9, v9
	v_cndmask_b32_e64 v6, v8, v6, s[2:3]
	s_nop 0
	v_cndmask_b32_e64 v10, 0, -1, vcc
	v_cmp_le_u32_e32 vcc, s8, v11
	s_nop 1
	v_cndmask_b32_e64 v11, 0, -1, vcc
	v_cmp_eq_u32_e32 vcc, s9, v9
	s_nop 1
	v_cndmask_b32_e32 v9, v10, v11, vcc
	v_cmp_ne_u32_e32 vcc, 0, v9
	s_nop 1
	v_cndmask_b32_e32 v4, v4, v6, vcc
	v_cndmask_b32_e32 v5, v5, v7, vcc
	v_xor_b32_e32 v4, v4, v0
	v_xor_b32_e32 v5, v5, v1
	v_sub_co_u32_e32 v0, vcc, v4, v0
	s_nop 1
	v_subb_co_u32_e32 v1, vcc, v5, v1, vcc
.LBB104_2:
	s_or_saveexec_b64 s[2:3], s[4:5]
	s_load_dwordx16 s[4:19], s[0:1], 0x0
	s_xor_b64 exec, exec, s[2:3]
	s_cbranch_execz .LBB104_4
; %bb.3:
	v_cvt_f32_u32_e32 v0, s20
	s_sub_i32 s22, 0, s20
	v_rcp_iflag_f32_e32 v0, v0
	s_nop 0
	v_mul_f32_e32 v0, 0x4f7ffffe, v0
	v_cvt_u32_f32_e32 v0, v0
	v_mul_lo_u32 v1, s22, v0
	v_mul_hi_u32 v1, v0, v1
	v_add_u32_e32 v0, v0, v1
	v_mul_hi_u32 v0, v2, v0
	v_mul_lo_u32 v1, v0, s20
	v_sub_u32_e32 v1, v2, v1
	v_add_u32_e32 v4, 1, v0
	v_subrev_u32_e32 v5, s20, v1
	v_cmp_le_u32_e32 vcc, s20, v1
	s_nop 1
	v_cndmask_b32_e32 v1, v1, v5, vcc
	v_cndmask_b32_e32 v0, v0, v4, vcc
	v_add_u32_e32 v4, 1, v0
	v_cmp_le_u32_e32 vcc, s20, v1
	v_mov_b32_e32 v1, 0
	s_nop 0
	v_cndmask_b32_e32 v0, v0, v4, vcc
.LBB104_4:
	s_or_b64 exec, exec, s[2:3]
	v_mul_lo_u32 v1, v1, s20
	v_mul_lo_u32 v6, v0, s21
	v_mad_u64_u32 v[4:5], s[2:3], v0, s20, 0
	v_add3_u32 v1, v5, v6, v1
	v_sub_co_u32_e32 v2, vcc, v2, v4
	s_nop 1
	v_subb_co_u32_e32 v3, vcc, v3, v1, vcc
	s_waitcnt lgkmcnt(0)
	v_cmp_gt_i64_e32 vcc, s[12:13], v[2:3]
	s_and_saveexec_b64 s[2:3], vcc
	s_cbranch_execz .LBB104_17
; %bb.5:
	s_load_dwordx2 s[2:3], s[16:17], 0x0
	v_ashrrev_i32_e32 v1, 31, v0
	s_waitcnt lgkmcnt(0)
	v_cmp_gt_i64_e32 vcc, s[2:3], v[0:1]
	s_and_b64 exec, exec, vcc
	s_cbranch_execz .LBB104_17
; %bb.6:
	v_lshl_add_u64 v[4:5], v[0:1], 3, s[14:15]
	global_load_dwordx2 v[4:5], v[4:5], off
	s_load_dwordx8 s[20:27], s[0:1], 0x40
	s_add_u32 s0, s2, -1
	s_addc_u32 s1, s3, -1
	v_cmp_ne_u64_e32 vcc, s[0:1], v[0:1]
	v_mov_b64_e32 v[6:7], s[10:11]
	s_and_saveexec_b64 s[0:1], vcc
	s_cbranch_execz .LBB104_8
; %bb.7:
	s_mov_b32 s2, 0
	v_mov_b32_e32 v6, 0
	v_mov_b32_e32 v7, v0
	s_mov_b32 s3, 1
	v_lshl_add_u64 v[6:7], v[6:7], 0, s[2:3]
	v_ashrrev_i64 v[6:7], 29, v[6:7]
	v_lshl_add_u64 v[6:7], s[14:15], 0, v[6:7]
	global_load_dwordx2 v[6:7], v[6:7], off
.LBB104_8:
	s_or_b64 exec, exec, s[0:1]
	s_waitcnt vmcnt(0)
	v_cmp_lt_i64_e32 vcc, v[4:5], v[6:7]
	v_mov_b32_e32 v16, 0
	s_and_saveexec_b64 s[2:3], vcc
	s_cbranch_execz .LBB104_15
; %bb.9:
	s_cmp_lg_u64 s[8:9], 0
	s_cselect_b64 s[0:1], -1, 0
	v_mov_b32_e32 v8, s6
	v_mov_b32_e32 v9, s7
	v_lshlrev_b64 v[12:13], 3, v[4:5]
	v_cndmask_b32_e64 v14, 0, 1, s[0:1]
	v_lshl_add_u64 v[8:9], v[2:3], 2, v[8:9]
	s_mov_b64 s[6:7], 0
	v_lshl_add_u64 v[10:11], s[8:9], 0, v[12:13]
	v_lshl_add_u64 v[12:13], s[4:5], 0, v[12:13]
	v_mov_b32_e32 v16, 0
	v_cmp_ne_u32_e64 s[0:1], 1, v14
	s_branch .LBB104_12
.LBB104_10:                             ;   in Loop: Header=BB104_12 Depth=1
	global_load_dwordx2 v[18:19], v[10:11], off
	s_waitcnt vmcnt(0)
	v_xor_b32_e32 v20, v18, v19
	v_ffbh_i32_e32 v17, v19
	v_ashrrev_i32_e32 v20, 31, v20
	v_add_u32_e32 v17, -1, v17
	v_add_u32_e32 v20, 32, v20
	v_min_u32_e32 v17, v17, v20
	v_lshlrev_b64 v[18:19], v17, v[18:19]
	v_min_u32_e32 v18, 1, v18
	v_or_b32_e32 v18, v19, v18
	v_cvt_f32_i32_e32 v18, v18
	v_sub_u32_e32 v17, 32, v17
	v_ldexp_f32 v17, v18, v17
	v_div_scale_f32 v18, s[4:5], v17, v17, 1.0
	v_rcp_f32_e32 v19, v18
	v_div_scale_f32 v20, vcc, 1.0, v17, 1.0
	v_fma_f32 v21, -v18, v19, 1.0
	v_fmac_f32_e32 v19, v21, v19
	v_mul_f32_e32 v21, v20, v19
	v_fma_f32 v22, -v18, v21, v20
	v_fmac_f32_e32 v21, v22, v19
	v_fma_f32 v18, -v18, v21, v20
	v_div_fmas_f32 v18, v18, v19, v21
	v_div_fixup_f32 v17, v18, v17, 1.0
.LBB104_11:                             ;   in Loop: Header=BB104_12 Depth=1
	s_waitcnt vmcnt(0)
	v_mul_lo_u32 v18, v15, s12
	v_mul_lo_u32 v19, v14, s13
	v_mad_u64_u32 v[14:15], s[4:5], v14, s12, 0
	v_add3_u32 v15, v15, v19, v18
	v_lshl_add_u64 v[14:15], v[14:15], 2, v[8:9]
	global_load_dword v14, v[14:15], off
	v_lshl_add_u64 v[4:5], v[4:5], 0, 1
	v_cmp_ge_i64_e32 vcc, v[4:5], v[6:7]
	v_lshl_add_u64 v[10:11], v[10:11], 0, 8
	s_or_b64 s[6:7], vcc, s[6:7]
	v_lshl_add_u64 v[12:13], v[12:13], 0, 8
	s_waitcnt vmcnt(0)
	v_fmac_f32_e32 v16, v17, v14
	s_andn2_b64 exec, exec, s[6:7]
	s_cbranch_execz .LBB104_14
.LBB104_12:                             ; =>This Inner Loop Header: Depth=1
	global_load_dwordx2 v[14:15], v[12:13], off
	s_and_b64 vcc, exec, s[0:1]
	s_cbranch_vccz .LBB104_10
; %bb.13:                               ;   in Loop: Header=BB104_12 Depth=1
	v_mov_b32_e32 v17, 1.0
	s_branch .LBB104_11
.LBB104_14:
	s_or_b64 exec, exec, s[6:7]
.LBB104_15:
	s_or_b64 exec, exec, s[2:3]
	s_waitcnt lgkmcnt(0)
	v_mov_b32_e32 v4, s20
	v_mov_b32_e32 v5, s21
	v_lshl_add_u64 v[0:1], v[0:1], 3, v[4:5]
	global_load_dwordx2 v[0:1], v[0:1], off
	v_mov_b32_e32 v4, s22
	v_mov_b32_e32 v5, s23
	s_waitcnt vmcnt(0)
	v_lshl_add_u64 v[0:1], v[0:1], 3, v[4:5]
	global_load_dwordx2 v[0:1], v[0:1], off
	v_mov_b32_e32 v4, s18
	v_mov_b32_e32 v5, s19
	s_waitcnt vmcnt(0)
	v_lshl_add_u64 v[0:1], v[0:1], 3, v[4:5]
	global_load_dwordx2 v[0:1], v[0:1], off
	s_waitcnt vmcnt(0)
	v_cmp_ne_u64_e32 vcc, s[26:27], v[0:1]
	s_and_b64 exec, exec, vcc
	s_cbranch_execz .LBB104_17
; %bb.16:
	v_mul_lo_u32 v6, v1, s12
	v_mul_lo_u32 v7, v0, s13
	v_mad_u64_u32 v[0:1], s[0:1], v0, s12, 0
	v_mov_b32_e32 v4, s24
	v_mov_b32_e32 v5, s25
	v_add3_u32 v1, v1, v7, v6
	v_lshl_add_u64 v[0:1], v[0:1], 2, v[4:5]
	v_lshl_add_u64 v[0:1], v[2:3], 2, v[0:1]
	global_atomic_add_f32 v[0:1], v16, off
.LBB104_17:
	s_endpgm
	.section	.rodata,"a",@progbits
	.p2align	6, 0x0
	.amdhsa_kernel _ZN2at6native12_GLOBAL__N_137compute_grad_weight_atomic_accumulateIfflEEvPKT1_PKT_S5_llS5_PKlS5_S5_S5_PT0_ll
		.amdhsa_group_segment_fixed_size 0
		.amdhsa_private_segment_fixed_size 0
		.amdhsa_kernarg_size 360
		.amdhsa_user_sgpr_count 2
		.amdhsa_user_sgpr_dispatch_ptr 0
		.amdhsa_user_sgpr_queue_ptr 0
		.amdhsa_user_sgpr_kernarg_segment_ptr 1
		.amdhsa_user_sgpr_dispatch_id 0
		.amdhsa_user_sgpr_kernarg_preload_length 0
		.amdhsa_user_sgpr_kernarg_preload_offset 0
		.amdhsa_user_sgpr_private_segment_size 0
		.amdhsa_uses_dynamic_stack 0
		.amdhsa_enable_private_segment 0
		.amdhsa_system_sgpr_workgroup_id_x 1
		.amdhsa_system_sgpr_workgroup_id_y 0
		.amdhsa_system_sgpr_workgroup_id_z 0
		.amdhsa_system_sgpr_workgroup_info 0
		.amdhsa_system_vgpr_workitem_id 0
		.amdhsa_next_free_vgpr 23
		.amdhsa_next_free_sgpr 28
		.amdhsa_accum_offset 24
		.amdhsa_reserve_vcc 1
		.amdhsa_float_round_mode_32 0
		.amdhsa_float_round_mode_16_64 0
		.amdhsa_float_denorm_mode_32 3
		.amdhsa_float_denorm_mode_16_64 3
		.amdhsa_dx10_clamp 1
		.amdhsa_ieee_mode 1
		.amdhsa_fp16_overflow 0
		.amdhsa_tg_split 0
		.amdhsa_exception_fp_ieee_invalid_op 0
		.amdhsa_exception_fp_denorm_src 0
		.amdhsa_exception_fp_ieee_div_zero 0
		.amdhsa_exception_fp_ieee_overflow 0
		.amdhsa_exception_fp_ieee_underflow 0
		.amdhsa_exception_fp_ieee_inexact 0
		.amdhsa_exception_int_div_zero 0
	.end_amdhsa_kernel
	.section	.text._ZN2at6native12_GLOBAL__N_137compute_grad_weight_atomic_accumulateIfflEEvPKT1_PKT_S5_llS5_PKlS5_S5_S5_PT0_ll,"axG",@progbits,_ZN2at6native12_GLOBAL__N_137compute_grad_weight_atomic_accumulateIfflEEvPKT1_PKT_S5_llS5_PKlS5_S5_S5_PT0_ll,comdat
.Lfunc_end104:
	.size	_ZN2at6native12_GLOBAL__N_137compute_grad_weight_atomic_accumulateIfflEEvPKT1_PKT_S5_llS5_PKlS5_S5_S5_PT0_ll, .Lfunc_end104-_ZN2at6native12_GLOBAL__N_137compute_grad_weight_atomic_accumulateIfflEEvPKT1_PKT_S5_llS5_PKlS5_S5_S5_PT0_ll
                                        ; -- End function
	.section	.AMDGPU.csdata,"",@progbits
; Kernel info:
; codeLenInByte = 1688
; NumSgprs: 34
; NumVgprs: 23
; NumAgprs: 0
; TotalNumVgprs: 23
; ScratchSize: 0
; MemoryBound: 0
; FloatMode: 240
; IeeeMode: 1
; LDSByteSize: 0 bytes/workgroup (compile time only)
; SGPRBlocks: 4
; VGPRBlocks: 2
; NumSGPRsForWavesPerEU: 34
; NumVGPRsForWavesPerEU: 23
; AccumOffset: 24
; Occupancy: 8
; WaveLimiterHint : 1
; COMPUTE_PGM_RSRC2:SCRATCH_EN: 0
; COMPUTE_PGM_RSRC2:USER_SGPR: 2
; COMPUTE_PGM_RSRC2:TRAP_HANDLER: 0
; COMPUTE_PGM_RSRC2:TGID_X_EN: 1
; COMPUTE_PGM_RSRC2:TGID_Y_EN: 0
; COMPUTE_PGM_RSRC2:TGID_Z_EN: 0
; COMPUTE_PGM_RSRC2:TIDIG_COMP_CNT: 0
; COMPUTE_PGM_RSRC3_GFX90A:ACCUM_OFFSET: 5
; COMPUTE_PGM_RSRC3_GFX90A:TG_SPLIT: 0
	.section	.text._ZN2at6native12_GLOBAL__N_124compute_grad_weight_bagsIflEEvPKT0_PKT_S5_S5_lliS5_S8_lS5_PKlPNS_14AccumulateTypeIS6_Lb1EE4typeEl,"axG",@progbits,_ZN2at6native12_GLOBAL__N_124compute_grad_weight_bagsIflEEvPKT0_PKT_S5_S5_lliS5_S8_lS5_PKlPNS_14AccumulateTypeIS6_Lb1EE4typeEl,comdat
	.globl	_ZN2at6native12_GLOBAL__N_124compute_grad_weight_bagsIflEEvPKT0_PKT_S5_S5_lliS5_S8_lS5_PKlPNS_14AccumulateTypeIS6_Lb1EE4typeEl ; -- Begin function _ZN2at6native12_GLOBAL__N_124compute_grad_weight_bagsIflEEvPKT0_PKT_S5_S5_lliS5_S8_lS5_PKlPNS_14AccumulateTypeIS6_Lb1EE4typeEl
	.p2align	8
	.type	_ZN2at6native12_GLOBAL__N_124compute_grad_weight_bagsIflEEvPKT0_PKT_S5_S5_lliS5_S8_lS5_PKlPNS_14AccumulateTypeIS6_Lb1EE4typeEl,@function
_ZN2at6native12_GLOBAL__N_124compute_grad_weight_bagsIflEEvPKT0_PKT_S5_S5_lliS5_S8_lS5_PKlPNS_14AccumulateTypeIS6_Lb1EE4typeEl: ; @_ZN2at6native12_GLOBAL__N_124compute_grad_weight_bagsIflEEvPKT0_PKT_S5_S5_lliS5_S8_lS5_PKlPNS_14AccumulateTypeIS6_Lb1EE4typeEl
; %bb.0:
	s_load_dword s3, s[0:1], 0x7c
	s_load_dwordx4 s[4:7], s[0:1], 0x58
	s_load_dwordx2 s[8:9], s[0:1], 0x68
	v_mov_b32_e32 v1, 0
	v_mov_b32_e32 v2, s2
	s_waitcnt lgkmcnt(0)
	s_and_b32 s3, s3, 0xffff
	v_mad_u64_u32 v[4:5], s[2:3], s3, v2, v[0:1]
	v_or_b32_e32 v3, s9, v5
	v_mov_b32_e32 v2, v1
	v_cmp_ne_u64_e32 vcc, 0, v[2:3]
                                        ; implicit-def: $vgpr2_vgpr3
	s_and_saveexec_b64 s[2:3], vcc
	s_xor_b64 s[10:11], exec, s[2:3]
	s_cbranch_execz .LBB105_2
; %bb.1:
	s_ashr_i32 s12, s9, 31
	s_add_u32 s2, s8, s12
	s_mov_b32 s13, s12
	s_addc_u32 s3, s9, s12
	s_xor_b64 s[14:15], s[2:3], s[12:13]
	v_cvt_f32_u32_e32 v0, s14
	v_cvt_f32_u32_e32 v2, s15
	s_sub_u32 s2, 0, s14
	s_subb_u32 s3, 0, s15
	v_fmamk_f32 v0, v2, 0x4f800000, v0
	v_rcp_f32_e32 v0, v0
	s_nop 0
	v_mul_f32_e32 v0, 0x5f7ffffc, v0
	v_mul_f32_e32 v2, 0x2f800000, v0
	v_trunc_f32_e32 v2, v2
	v_fmamk_f32 v0, v2, 0xcf800000, v0
	v_cvt_u32_f32_e32 v6, v2
	v_cvt_u32_f32_e32 v7, v0
	v_mul_lo_u32 v0, s2, v6
	v_mul_hi_u32 v3, s2, v7
	v_mul_lo_u32 v2, s3, v7
	v_add_u32_e32 v0, v3, v0
	v_mul_lo_u32 v8, s2, v7
	v_add_u32_e32 v9, v0, v2
	v_mul_hi_u32 v3, v7, v9
	v_mul_lo_u32 v2, v7, v9
	v_mul_hi_u32 v0, v7, v8
	v_lshl_add_u64 v[2:3], v[0:1], 0, v[2:3]
	v_mul_hi_u32 v0, v6, v8
	v_mul_lo_u32 v8, v6, v8
	v_add_co_u32_e32 v2, vcc, v2, v8
	v_mul_hi_u32 v10, v6, v9
	s_nop 0
	v_addc_co_u32_e32 v0, vcc, v3, v0, vcc
	v_mul_lo_u32 v2, v6, v9
	s_nop 0
	v_addc_co_u32_e32 v3, vcc, 0, v10, vcc
	v_lshl_add_u64 v[2:3], v[0:1], 0, v[2:3]
	v_add_co_u32_e32 v7, vcc, v7, v2
	v_mul_hi_u32 v2, s2, v7
	s_nop 0
	v_addc_co_u32_e32 v6, vcc, v6, v3, vcc
	v_mul_lo_u32 v0, s2, v6
	v_add_u32_e32 v0, v2, v0
	v_mul_lo_u32 v2, s3, v7
	v_add_u32_e32 v8, v0, v2
	v_mul_lo_u32 v0, s2, v7
	v_mul_hi_u32 v10, v6, v0
	v_mul_lo_u32 v11, v6, v0
	v_mul_hi_u32 v3, v7, v8
	;; [unrolled: 2-line block ×3, first 2 shown]
	v_lshl_add_u64 v[2:3], v[0:1], 0, v[2:3]
	v_add_co_u32_e32 v0, vcc, v2, v11
	v_mul_hi_u32 v9, v6, v8
	s_nop 0
	v_addc_co_u32_e32 v0, vcc, v3, v10, vcc
	v_mul_lo_u32 v2, v6, v8
	s_nop 0
	v_addc_co_u32_e32 v3, vcc, 0, v9, vcc
	v_lshl_add_u64 v[2:3], v[0:1], 0, v[2:3]
	v_add_co_u32_e32 v10, vcc, v7, v2
	v_ashrrev_i32_e32 v2, 31, v5
	s_nop 0
	v_addc_co_u32_e32 v8, vcc, v6, v3, vcc
	v_mov_b32_e32 v3, v2
	v_lshl_add_u64 v[6:7], v[4:5], 0, v[2:3]
	v_xor_b32_e32 v12, v6, v2
	v_xor_b32_e32 v3, v7, v2
	v_mad_u64_u32 v[6:7], s[2:3], v12, v8, 0
	v_mul_hi_u32 v0, v12, v10
	v_lshl_add_u64 v[6:7], v[0:1], 0, v[6:7]
	v_mad_u64_u32 v[10:11], s[2:3], v3, v10, 0
	v_add_co_u32_e32 v0, vcc, v6, v10
	v_mad_u64_u32 v[8:9], s[2:3], v3, v8, 0
	s_nop 0
	v_addc_co_u32_e32 v0, vcc, v7, v11, vcc
	s_nop 1
	v_addc_co_u32_e32 v9, vcc, 0, v9, vcc
	v_lshl_add_u64 v[0:1], v[0:1], 0, v[8:9]
	v_mul_lo_u32 v8, s15, v0
	v_mul_lo_u32 v9, s14, v1
	v_mad_u64_u32 v[6:7], s[2:3], s14, v0, 0
	v_add3_u32 v10, v7, v9, v8
	v_sub_u32_e32 v7, v3, v10
	v_mov_b32_e32 v8, s15
	v_sub_co_u32_e32 v11, vcc, v12, v6
	s_nop 1
	v_subb_co_u32_e64 v6, s[2:3], v7, v8, vcc
	v_subrev_co_u32_e64 v7, s[2:3], s14, v11
	v_subb_co_u32_e32 v3, vcc, v3, v10, vcc
	s_nop 0
	v_subbrev_co_u32_e64 v6, s[2:3], 0, v6, s[2:3]
	v_cmp_le_u32_e64 s[2:3], s15, v6
	v_cmp_le_u32_e32 vcc, s15, v3
	s_nop 0
	v_cndmask_b32_e64 v8, 0, -1, s[2:3]
	v_cmp_le_u32_e64 s[2:3], s14, v7
	s_nop 1
	v_cndmask_b32_e64 v7, 0, -1, s[2:3]
	v_cmp_eq_u32_e64 s[2:3], s15, v6
	s_nop 1
	v_cndmask_b32_e64 v12, v8, v7, s[2:3]
	v_lshl_add_u64 v[6:7], v[0:1], 0, 2
	v_lshl_add_u64 v[8:9], v[0:1], 0, 1
	v_cmp_ne_u32_e64 s[2:3], 0, v12
	s_nop 1
	v_cndmask_b32_e64 v7, v9, v7, s[2:3]
	v_cndmask_b32_e64 v9, 0, -1, vcc
	v_cmp_le_u32_e32 vcc, s14, v11
	s_nop 1
	v_cndmask_b32_e64 v10, 0, -1, vcc
	v_cmp_eq_u32_e32 vcc, s15, v3
	s_nop 1
	v_cndmask_b32_e32 v3, v9, v10, vcc
	v_cmp_ne_u32_e32 vcc, 0, v3
	v_cndmask_b32_e64 v3, v8, v6, s[2:3]
	s_nop 0
	v_cndmask_b32_e32 v0, v0, v3, vcc
	v_xor_b32_e32 v3, s12, v2
	v_cndmask_b32_e32 v1, v1, v7, vcc
	v_xor_b32_e32 v0, v0, v3
	v_xor_b32_e32 v1, v1, v3
	v_sub_co_u32_e32 v2, vcc, v0, v3
	s_nop 1
	v_subb_co_u32_e32 v3, vcc, v1, v3, vcc
.LBB105_2:
	s_or_saveexec_b64 s[2:3], s[10:11]
	s_load_dwordx2 s[4:5], s[4:5], 0x0
	s_xor_b64 exec, exec, s[2:3]
	s_cbranch_execz .LBB105_4
; %bb.3:
	v_cvt_f32_u32_e32 v0, s8
	s_sub_i32 s10, 0, s8
	v_rcp_iflag_f32_e32 v0, v0
	s_nop 0
	v_mul_f32_e32 v0, 0x4f7ffffe, v0
	v_cvt_u32_f32_e32 v0, v0
	v_mul_lo_u32 v1, s10, v0
	v_mul_hi_u32 v1, v0, v1
	v_add_u32_e32 v0, v0, v1
	v_mul_hi_u32 v0, v4, v0
	v_mul_lo_u32 v1, v0, s8
	v_sub_u32_e32 v1, v4, v1
	v_add_u32_e32 v2, 1, v0
	v_subrev_u32_e32 v3, s8, v1
	v_cmp_le_u32_e32 vcc, s8, v1
	s_nop 1
	v_cndmask_b32_e32 v1, v1, v3, vcc
	v_cndmask_b32_e32 v0, v0, v2, vcc
	v_add_u32_e32 v2, 1, v0
	v_cmp_le_u32_e32 vcc, s8, v1
	v_mov_b32_e32 v3, 0
	s_nop 0
	v_cndmask_b32_e32 v2, v0, v2, vcc
.LBB105_4:
	s_or_b64 exec, exec, s[2:3]
	s_load_dwordx4 s[24:27], s[0:1], 0x20
	v_mul_lo_u32 v6, v3, s8
	v_mul_lo_u32 v7, v2, s9
	v_mad_u64_u32 v[0:1], s[2:3], v2, s8, 0
	v_add3_u32 v1, v1, v7, v6
	v_sub_co_u32_e32 v0, vcc, v4, v0
	s_waitcnt lgkmcnt(0)
	v_cmp_gt_i64_e64 s[2:3], s[4:5], v[2:3]
	v_subb_co_u32_e32 v1, vcc, v5, v1, vcc
	v_cmp_gt_i64_e32 vcc, s[26:27], v[0:1]
	s_and_b64 s[2:3], vcc, s[2:3]
	s_and_saveexec_b64 s[8:9], s[2:3]
	s_cbranch_execz .LBB105_18
; %bb.5:
	s_load_dwordx8 s[8:15], s[0:1], 0x38
	s_load_dwordx8 s[16:23], s[0:1], 0x0
	s_add_u32 s2, s4, -1
	s_addc_u32 s3, s5, -1
	v_cmp_ne_u64_e32 vcc, s[2:3], v[2:3]
	s_waitcnt lgkmcnt(0)
	v_mov_b32_e32 v4, s14
	v_mov_b32_e32 v5, s15
	v_lshl_add_u64 v[8:9], v[2:3], 3, v[4:5]
	global_load_dwordx2 v[4:5], v[8:9], off
	v_mov_b64_e32 v[6:7], s[24:25]
	s_and_saveexec_b64 s[2:3], vcc
	s_cbranch_execz .LBB105_7
; %bb.6:
	global_load_dwordx2 v[6:7], v[8:9], off offset:8
.LBB105_7:
	s_or_b64 exec, exec, s[2:3]
	s_waitcnt vmcnt(0)
	v_cmp_lt_i32_e32 vcc, v4, v6
	v_mov_b32_e32 v5, 0
	s_and_saveexec_b64 s[14:15], vcc
	s_cbranch_execz .LBB105_17
; %bb.8:
	s_load_dword s4, s[0:1], 0x30
	s_cmp_lg_u64 s[22:23], 0
	s_cselect_b64 s[0:1], -1, 0
	s_cmp_lg_u64 s[10:11], 0
	v_ashrrev_i32_e32 v5, 31, v4
	s_cselect_b64 s[2:3], -1, 0
	s_waitcnt lgkmcnt(0)
	s_cmp_lg_u32 s4, 0
	v_lshlrev_b64 v[12:13], 3, v[4:5]
	v_cndmask_b32_e64 v5, 0, 1, s[0:1]
	v_cmp_ne_u32_e64 s[0:1], 1, v5
	v_cndmask_b32_e64 v5, 0, 1, s[2:3]
	s_cselect_b64 s[4:5], -1, 0
	v_mov_b32_e32 v8, s18
	v_mov_b32_e32 v9, s19
	v_cmp_ne_u32_e64 s[2:3], 1, v5
	v_cndmask_b32_e64 v5, 0, 1, s[4:5]
	v_lshl_add_u64 v[8:9], v[0:1], 2, v[8:9]
	s_mov_b64 s[18:19], 0
	s_mov_b32 s24, s26
	v_lshl_add_u64 v[10:11], s[16:17], 0, v[12:13]
	v_lshl_add_u64 v[12:13], s[22:23], 0, v[12:13]
	v_mov_b32_e32 v14, 0
	v_cmp_ne_u32_e64 s[4:5], 1, v5
	v_mov_b32_e32 v5, 0
	s_branch .LBB105_10
.LBB105_9:                              ;   in Loop: Header=BB105_10 Depth=1
	v_add_u32_e32 v4, 1, v4
	v_cmp_ge_i32_e32 vcc, v4, v6
	s_waitcnt vmcnt(0)
	v_fmac_f32_e32 v5, v7, v17
	v_lshl_add_u64 v[10:11], v[10:11], 0, 8
	s_or_b64 s[18:19], vcc, s[18:19]
	v_lshl_add_u64 v[12:13], v[12:13], 0, 8
	s_andn2_b64 exec, exec, s[18:19]
	s_cbranch_execz .LBB105_16
.LBB105_10:                             ; =>This Inner Loop Header: Depth=1
	global_load_dword v18, v[10:11], off
	s_and_b64 vcc, exec, s[0:1]
	s_waitcnt vmcnt(0)
	v_ashrrev_i32_e32 v19, 31, v18
	v_lshl_add_u64 v[16:17], v[18:19], 3, s[20:21]
	global_load_dwordx2 v[16:17], v[16:17], off
	s_cbranch_vccnz .LBB105_15
; %bb.11:                               ;   in Loop: Header=BB105_10 Depth=1
	global_load_dwordx2 v[20:21], v[12:13], off
	s_waitcnt vmcnt(0)
	v_cvt_f64_i32_e32 v[22:23], v21
	v_cvt_f64_u32_e32 v[20:21], v20
	v_ldexp_f64 v[22:23], v[22:23], 32
	v_add_f64 v[20:21], v[22:23], v[20:21]
	v_div_scale_f64 v[22:23], s[16:17], v[20:21], v[20:21], 1.0
	v_rcp_f64_e32 v[24:25], v[22:23]
	v_div_scale_f64 v[26:27], vcc, 1.0, v[20:21], 1.0
	v_fma_f64 v[28:29], -v[22:23], v[24:25], 1.0
	v_fmac_f64_e32 v[24:25], v[24:25], v[28:29]
	v_fma_f64 v[28:29], -v[22:23], v[24:25], 1.0
	v_fmac_f64_e32 v[24:25], v[24:25], v[28:29]
	v_mul_f64 v[28:29], v[26:27], v[24:25]
	v_fma_f64 v[22:23], -v[22:23], v[28:29], v[26:27]
	v_div_fmas_f64 v[22:23], v[22:23], v[24:25], v[28:29]
	v_div_fixup_f64 v[20:21], v[22:23], v[20:21], 1.0
	s_and_b64 vcc, exec, s[2:3]
	v_cvt_f32_f64_e32 v7, v[20:21]
	s_cbranch_vccnz .LBB105_13
.LBB105_12:                             ;   in Loop: Header=BB105_10 Depth=1
	v_mul_lo_u32 v15, v19, s12
	v_mul_lo_u32 v20, v18, s13
	v_mad_u64_u32 v[18:19], s[16:17], v18, s12, 0
	v_add3_u32 v19, v19, v20, v15
	v_lshl_add_u64 v[18:19], v[18:19], 2, s[10:11]
	global_load_dword v15, v[18:19], off
	s_waitcnt vmcnt(0)
	v_mul_f32_e32 v7, v15, v7
.LBB105_13:                             ;   in Loop: Header=BB105_10 Depth=1
	s_waitcnt vmcnt(0)
	v_mul_lo_u32 v15, s24, v16
	v_mul_lo_u32 v17, 0, v17
	v_mad_u64_u32 v[18:19], s[16:17], 0, v16, 0
	v_add3_u32 v19, v19, v17, v15
	v_ashrrev_i64 v[18:19], 30, v[18:19]
	v_lshl_add_u64 v[18:19], v[8:9], 0, v[18:19]
	global_load_dword v17, v[18:19], off
	s_and_b64 vcc, exec, s[4:5]
	s_cbranch_vccnz .LBB105_9
; %bb.14:                               ;   in Loop: Header=BB105_10 Depth=1
	v_mov_b32_e32 v15, v16
	v_ashrrev_i64 v[18:19], 29, v[14:15]
	v_lshl_add_u64 v[18:19], s[8:9], 0, v[18:19]
	global_load_dwordx2 v[18:19], v[18:19], off
	s_waitcnt vmcnt(0)
	v_xor_b32_e32 v15, v18, v19
	v_ffbh_i32_e32 v16, v19
	v_ashrrev_i32_e32 v15, 31, v15
	v_add_u32_e32 v16, -1, v16
	v_add_u32_e32 v15, 32, v15
	v_min_u32_e32 v15, v16, v15
	v_lshlrev_b64 v[18:19], v15, v[18:19]
	v_min_u32_e32 v16, 1, v18
	v_or_b32_e32 v16, v19, v16
	v_cvt_f32_i32_e32 v16, v16
	v_sub_u32_e32 v15, 32, v15
	v_ldexp_f32 v15, v16, v15
	v_div_scale_f32 v16, s[16:17], v15, v15, v17
	v_rcp_f32_e32 v18, v16
	v_div_scale_f32 v19, vcc, v17, v15, v17
	v_fma_f32 v20, -v16, v18, 1.0
	v_fmac_f32_e32 v18, v20, v18
	v_mul_f32_e32 v20, v19, v18
	v_fma_f32 v21, -v16, v20, v19
	v_fmac_f32_e32 v20, v21, v18
	v_fma_f32 v16, -v16, v20, v19
	v_div_fmas_f32 v16, v16, v18, v20
	v_div_fixup_f32 v17, v16, v15, v17
	s_branch .LBB105_9
.LBB105_15:                             ;   in Loop: Header=BB105_10 Depth=1
	v_mov_b64_e32 v[20:21], 1.0
	s_and_b64 vcc, exec, s[2:3]
	v_cvt_f32_f64_e32 v7, v[20:21]
	s_cbranch_vccz .LBB105_12
	s_branch .LBB105_13
.LBB105_16:
	s_or_b64 exec, exec, s[18:19]
.LBB105_17:
	s_or_b64 exec, exec, s[14:15]
	v_mul_lo_u32 v4, v3, s26
	v_mul_lo_u32 v8, v2, s27
	v_mad_u64_u32 v[2:3], s[0:1], v2, s26, 0
	v_mov_b32_e32 v6, s6
	v_mov_b32_e32 v7, s7
	v_add3_u32 v3, v3, v8, v4
	v_lshl_add_u64 v[2:3], v[2:3], 2, v[6:7]
	v_lshl_add_u64 v[0:1], v[0:1], 2, v[2:3]
	global_store_dword v[0:1], v5, off
.LBB105_18:
	s_endpgm
	.section	.rodata,"a",@progbits
	.p2align	6, 0x0
	.amdhsa_kernel _ZN2at6native12_GLOBAL__N_124compute_grad_weight_bagsIflEEvPKT0_PKT_S5_S5_lliS5_S8_lS5_PKlPNS_14AccumulateTypeIS6_Lb1EE4typeEl
		.amdhsa_group_segment_fixed_size 0
		.amdhsa_private_segment_fixed_size 0
		.amdhsa_kernarg_size 368
		.amdhsa_user_sgpr_count 2
		.amdhsa_user_sgpr_dispatch_ptr 0
		.amdhsa_user_sgpr_queue_ptr 0
		.amdhsa_user_sgpr_kernarg_segment_ptr 1
		.amdhsa_user_sgpr_dispatch_id 0
		.amdhsa_user_sgpr_kernarg_preload_length 0
		.amdhsa_user_sgpr_kernarg_preload_offset 0
		.amdhsa_user_sgpr_private_segment_size 0
		.amdhsa_uses_dynamic_stack 0
		.amdhsa_enable_private_segment 0
		.amdhsa_system_sgpr_workgroup_id_x 1
		.amdhsa_system_sgpr_workgroup_id_y 0
		.amdhsa_system_sgpr_workgroup_id_z 0
		.amdhsa_system_sgpr_workgroup_info 0
		.amdhsa_system_vgpr_workitem_id 0
		.amdhsa_next_free_vgpr 30
		.amdhsa_next_free_sgpr 28
		.amdhsa_accum_offset 32
		.amdhsa_reserve_vcc 1
		.amdhsa_float_round_mode_32 0
		.amdhsa_float_round_mode_16_64 0
		.amdhsa_float_denorm_mode_32 3
		.amdhsa_float_denorm_mode_16_64 3
		.amdhsa_dx10_clamp 1
		.amdhsa_ieee_mode 1
		.amdhsa_fp16_overflow 0
		.amdhsa_tg_split 0
		.amdhsa_exception_fp_ieee_invalid_op 0
		.amdhsa_exception_fp_denorm_src 0
		.amdhsa_exception_fp_ieee_div_zero 0
		.amdhsa_exception_fp_ieee_overflow 0
		.amdhsa_exception_fp_ieee_underflow 0
		.amdhsa_exception_fp_ieee_inexact 0
		.amdhsa_exception_int_div_zero 0
	.end_amdhsa_kernel
	.section	.text._ZN2at6native12_GLOBAL__N_124compute_grad_weight_bagsIflEEvPKT0_PKT_S5_S5_lliS5_S8_lS5_PKlPNS_14AccumulateTypeIS6_Lb1EE4typeEl,"axG",@progbits,_ZN2at6native12_GLOBAL__N_124compute_grad_weight_bagsIflEEvPKT0_PKT_S5_S5_lliS5_S8_lS5_PKlPNS_14AccumulateTypeIS6_Lb1EE4typeEl,comdat
.Lfunc_end105:
	.size	_ZN2at6native12_GLOBAL__N_124compute_grad_weight_bagsIflEEvPKT0_PKT_S5_S5_lliS5_S8_lS5_PKlPNS_14AccumulateTypeIS6_Lb1EE4typeEl, .Lfunc_end105-_ZN2at6native12_GLOBAL__N_124compute_grad_weight_bagsIflEEvPKT0_PKT_S5_S5_lliS5_S8_lS5_PKlPNS_14AccumulateTypeIS6_Lb1EE4typeEl
                                        ; -- End function
	.section	.AMDGPU.csdata,"",@progbits
; Kernel info:
; codeLenInByte = 1860
; NumSgprs: 34
; NumVgprs: 30
; NumAgprs: 0
; TotalNumVgprs: 30
; ScratchSize: 0
; MemoryBound: 0
; FloatMode: 240
; IeeeMode: 1
; LDSByteSize: 0 bytes/workgroup (compile time only)
; SGPRBlocks: 4
; VGPRBlocks: 3
; NumSGPRsForWavesPerEU: 34
; NumVGPRsForWavesPerEU: 30
; AccumOffset: 32
; Occupancy: 8
; WaveLimiterHint : 1
; COMPUTE_PGM_RSRC2:SCRATCH_EN: 0
; COMPUTE_PGM_RSRC2:USER_SGPR: 2
; COMPUTE_PGM_RSRC2:TRAP_HANDLER: 0
; COMPUTE_PGM_RSRC2:TGID_X_EN: 1
; COMPUTE_PGM_RSRC2:TGID_Y_EN: 0
; COMPUTE_PGM_RSRC2:TGID_Z_EN: 0
; COMPUTE_PGM_RSRC2:TIDIG_COMP_CNT: 0
; COMPUTE_PGM_RSRC3_GFX90A:ACCUM_OFFSET: 7
; COMPUTE_PGM_RSRC3_GFX90A:TG_SPLIT: 0
	.section	.text._ZN2at6native12_GLOBAL__N_119compute_grad_weightIflEEvPKT0_PKT_S5_llS5_PKlPNS_14AccumulateTypeIS6_Lb1EE4typeEl,"axG",@progbits,_ZN2at6native12_GLOBAL__N_119compute_grad_weightIflEEvPKT0_PKT_S5_llS5_PKlPNS_14AccumulateTypeIS6_Lb1EE4typeEl,comdat
	.globl	_ZN2at6native12_GLOBAL__N_119compute_grad_weightIflEEvPKT0_PKT_S5_llS5_PKlPNS_14AccumulateTypeIS6_Lb1EE4typeEl ; -- Begin function _ZN2at6native12_GLOBAL__N_119compute_grad_weightIflEEvPKT0_PKT_S5_llS5_PKlPNS_14AccumulateTypeIS6_Lb1EE4typeEl
	.p2align	8
	.type	_ZN2at6native12_GLOBAL__N_119compute_grad_weightIflEEvPKT0_PKT_S5_llS5_PKlPNS_14AccumulateTypeIS6_Lb1EE4typeEl,@function
_ZN2at6native12_GLOBAL__N_119compute_grad_weightIflEEvPKT0_PKT_S5_llS5_PKlPNS_14AccumulateTypeIS6_Lb1EE4typeEl: ; @_ZN2at6native12_GLOBAL__N_119compute_grad_weightIflEEvPKT0_PKT_S5_llS5_PKlPNS_14AccumulateTypeIS6_Lb1EE4typeEl
; %bb.0:
	s_load_dword s3, s[0:1], 0x54
	s_load_dwordx2 s[20:21], s[0:1], 0x40
	s_load_dwordx16 s[4:19], s[0:1], 0x0
	v_mov_b32_e32 v1, 0
	v_mov_b32_e32 v2, s2
	s_waitcnt lgkmcnt(0)
	s_and_b32 s0, s3, 0xffff
	v_mad_u64_u32 v[2:3], s[0:1], s0, v2, v[0:1]
	v_or_b32_e32 v5, s21, v3
	v_mov_b32_e32 v4, v1
	v_cmp_ne_u64_e32 vcc, 0, v[4:5]
                                        ; implicit-def: $vgpr4_vgpr5
	s_and_saveexec_b64 s[0:1], vcc
	s_xor_b64 s[2:3], exec, s[0:1]
	s_cbranch_execz .LBB106_2
; %bb.1:
	s_ashr_i32 s22, s21, 31
	s_add_u32 s0, s20, s22
	s_mov_b32 s23, s22
	s_addc_u32 s1, s21, s22
	s_xor_b64 s[24:25], s[0:1], s[22:23]
	v_cvt_f32_u32_e32 v0, s24
	v_cvt_f32_u32_e32 v4, s25
	s_sub_u32 s0, 0, s24
	s_subb_u32 s1, 0, s25
	v_fmamk_f32 v0, v4, 0x4f800000, v0
	v_rcp_f32_e32 v0, v0
	s_nop 0
	v_mul_f32_e32 v0, 0x5f7ffffc, v0
	v_mul_f32_e32 v4, 0x2f800000, v0
	v_trunc_f32_e32 v4, v4
	v_fmamk_f32 v0, v4, 0xcf800000, v0
	v_cvt_u32_f32_e32 v6, v4
	v_cvt_u32_f32_e32 v7, v0
	v_mul_lo_u32 v0, s0, v6
	v_mul_hi_u32 v5, s0, v7
	v_mul_lo_u32 v4, s1, v7
	v_add_u32_e32 v0, v5, v0
	v_mul_lo_u32 v8, s0, v7
	v_add_u32_e32 v9, v0, v4
	v_mul_hi_u32 v5, v7, v9
	v_mul_lo_u32 v4, v7, v9
	v_mul_hi_u32 v0, v7, v8
	v_lshl_add_u64 v[4:5], v[0:1], 0, v[4:5]
	v_mul_hi_u32 v0, v6, v8
	v_mul_lo_u32 v8, v6, v8
	v_add_co_u32_e32 v4, vcc, v4, v8
	v_mul_hi_u32 v10, v6, v9
	s_nop 0
	v_addc_co_u32_e32 v0, vcc, v5, v0, vcc
	v_mul_lo_u32 v4, v6, v9
	s_nop 0
	v_addc_co_u32_e32 v5, vcc, 0, v10, vcc
	v_lshl_add_u64 v[4:5], v[0:1], 0, v[4:5]
	v_add_co_u32_e32 v7, vcc, v7, v4
	v_mul_hi_u32 v4, s0, v7
	s_nop 0
	v_addc_co_u32_e32 v6, vcc, v6, v5, vcc
	v_mul_lo_u32 v0, s0, v6
	v_add_u32_e32 v0, v4, v0
	v_mul_lo_u32 v4, s1, v7
	v_add_u32_e32 v8, v0, v4
	v_mul_lo_u32 v0, s0, v7
	v_mul_hi_u32 v10, v6, v0
	v_mul_lo_u32 v11, v6, v0
	v_mul_hi_u32 v5, v7, v8
	;; [unrolled: 2-line block ×3, first 2 shown]
	v_lshl_add_u64 v[4:5], v[0:1], 0, v[4:5]
	v_add_co_u32_e32 v0, vcc, v4, v11
	v_mul_hi_u32 v9, v6, v8
	s_nop 0
	v_addc_co_u32_e32 v0, vcc, v5, v10, vcc
	v_mul_lo_u32 v4, v6, v8
	s_nop 0
	v_addc_co_u32_e32 v5, vcc, 0, v9, vcc
	v_lshl_add_u64 v[4:5], v[0:1], 0, v[4:5]
	v_add_co_u32_e32 v10, vcc, v7, v4
	v_ashrrev_i32_e32 v4, 31, v3
	s_nop 0
	v_addc_co_u32_e32 v8, vcc, v6, v5, vcc
	v_mov_b32_e32 v5, v4
	v_lshl_add_u64 v[6:7], v[2:3], 0, v[4:5]
	v_xor_b32_e32 v12, v6, v4
	v_xor_b32_e32 v5, v7, v4
	v_mad_u64_u32 v[6:7], s[0:1], v12, v8, 0
	v_mul_hi_u32 v0, v12, v10
	v_lshl_add_u64 v[6:7], v[0:1], 0, v[6:7]
	v_mad_u64_u32 v[10:11], s[0:1], v5, v10, 0
	v_add_co_u32_e32 v0, vcc, v6, v10
	v_mad_u64_u32 v[8:9], s[0:1], v5, v8, 0
	s_nop 0
	v_addc_co_u32_e32 v0, vcc, v7, v11, vcc
	s_nop 1
	v_addc_co_u32_e32 v9, vcc, 0, v9, vcc
	v_lshl_add_u64 v[0:1], v[0:1], 0, v[8:9]
	v_mul_lo_u32 v8, s25, v0
	v_mul_lo_u32 v9, s24, v1
	v_mad_u64_u32 v[6:7], s[0:1], s24, v0, 0
	v_add3_u32 v10, v7, v9, v8
	v_sub_u32_e32 v7, v5, v10
	v_mov_b32_e32 v8, s25
	v_sub_co_u32_e32 v11, vcc, v12, v6
	s_nop 1
	v_subb_co_u32_e64 v6, s[0:1], v7, v8, vcc
	v_subrev_co_u32_e64 v7, s[0:1], s24, v11
	v_subb_co_u32_e32 v5, vcc, v5, v10, vcc
	s_nop 0
	v_subbrev_co_u32_e64 v6, s[0:1], 0, v6, s[0:1]
	v_cmp_le_u32_e64 s[0:1], s25, v6
	v_cmp_le_u32_e32 vcc, s25, v5
	s_nop 0
	v_cndmask_b32_e64 v8, 0, -1, s[0:1]
	v_cmp_le_u32_e64 s[0:1], s24, v7
	s_nop 1
	v_cndmask_b32_e64 v7, 0, -1, s[0:1]
	v_cmp_eq_u32_e64 s[0:1], s25, v6
	s_nop 1
	v_cndmask_b32_e64 v12, v8, v7, s[0:1]
	v_lshl_add_u64 v[6:7], v[0:1], 0, 2
	v_lshl_add_u64 v[8:9], v[0:1], 0, 1
	v_cmp_ne_u32_e64 s[0:1], 0, v12
	s_nop 1
	v_cndmask_b32_e64 v7, v9, v7, s[0:1]
	v_cndmask_b32_e64 v9, 0, -1, vcc
	v_cmp_le_u32_e32 vcc, s24, v11
	s_nop 1
	v_cndmask_b32_e64 v10, 0, -1, vcc
	v_cmp_eq_u32_e32 vcc, s25, v5
	s_nop 1
	v_cndmask_b32_e32 v5, v9, v10, vcc
	v_cmp_ne_u32_e32 vcc, 0, v5
	v_cndmask_b32_e64 v5, v8, v6, s[0:1]
	s_nop 0
	v_cndmask_b32_e32 v0, v0, v5, vcc
	v_xor_b32_e32 v5, s22, v4
	v_cndmask_b32_e32 v1, v1, v7, vcc
	v_xor_b32_e32 v0, v0, v5
	v_xor_b32_e32 v1, v1, v5
	v_sub_co_u32_e32 v4, vcc, v0, v5
	s_nop 1
	v_subb_co_u32_e32 v5, vcc, v1, v5, vcc
.LBB106_2:
	s_or_saveexec_b64 s[0:1], s[2:3]
	s_load_dwordx2 s[2:3], s[16:17], 0x0
	s_xor_b64 exec, exec, s[0:1]
	s_cbranch_execz .LBB106_4
; %bb.3:
	v_cvt_f32_u32_e32 v0, s20
	s_sub_i32 s16, 0, s20
	v_rcp_iflag_f32_e32 v0, v0
	s_nop 0
	v_mul_f32_e32 v0, 0x4f7ffffe, v0
	v_cvt_u32_f32_e32 v0, v0
	v_mul_lo_u32 v1, s16, v0
	v_mul_hi_u32 v1, v0, v1
	v_add_u32_e32 v0, v0, v1
	v_mul_hi_u32 v0, v2, v0
	v_mul_lo_u32 v1, v0, s20
	v_sub_u32_e32 v1, v2, v1
	v_add_u32_e32 v4, 1, v0
	v_subrev_u32_e32 v5, s20, v1
	v_cmp_le_u32_e32 vcc, s20, v1
	s_nop 1
	v_cndmask_b32_e32 v1, v1, v5, vcc
	v_cndmask_b32_e32 v0, v0, v4, vcc
	v_add_u32_e32 v4, 1, v0
	v_cmp_le_u32_e32 vcc, s20, v1
	v_mov_b32_e32 v5, 0
	s_nop 0
	v_cndmask_b32_e32 v4, v0, v4, vcc
.LBB106_4:
	s_or_b64 exec, exec, s[0:1]
	v_mul_lo_u32 v6, v5, s20
	v_mul_lo_u32 v7, v4, s21
	v_mad_u64_u32 v[0:1], s[0:1], v4, s20, 0
	v_add3_u32 v1, v1, v7, v6
	v_sub_co_u32_e32 v0, vcc, v2, v0
	s_waitcnt lgkmcnt(0)
	v_cmp_gt_i64_e64 s[0:1], s[2:3], v[4:5]
	v_subb_co_u32_e32 v1, vcc, v3, v1, vcc
	v_cmp_gt_i64_e32 vcc, s[12:13], v[0:1]
	s_and_b64 s[0:1], vcc, s[0:1]
	s_and_saveexec_b64 s[16:17], s[0:1]
	s_cbranch_execz .LBB106_15
; %bb.5:
	v_mov_b32_e32 v2, s14
	v_mov_b32_e32 v3, s15
	v_lshl_add_u64 v[8:9], v[4:5], 3, v[2:3]
	global_load_dwordx2 v[2:3], v[8:9], off
	s_add_u32 s0, s2, -1
	s_addc_u32 s1, s3, -1
	v_cmp_ne_u64_e32 vcc, s[0:1], v[4:5]
	v_mov_b64_e32 v[6:7], s[10:11]
	s_and_saveexec_b64 s[0:1], vcc
	s_cbranch_execz .LBB106_7
; %bb.6:
	global_load_dwordx2 v[6:7], v[8:9], off offset:8
.LBB106_7:
	s_or_b64 exec, exec, s[0:1]
	s_waitcnt vmcnt(0)
	v_cmp_lt_i32_e32 vcc, v2, v6
	v_mov_b32_e32 v3, 0
	s_and_saveexec_b64 s[2:3], vcc
	s_cbranch_execz .LBB106_14
; %bb.8:
	s_cmp_lg_u64 s[8:9], 0
	v_ashrrev_i32_e32 v3, 31, v2
	s_cselect_b64 s[0:1], -1, 0
	v_mov_b32_e32 v8, s6
	v_mov_b32_e32 v9, s7
	v_lshlrev_b64 v[12:13], 3, v[2:3]
	v_cndmask_b32_e64 v7, 0, 1, s[0:1]
	v_lshl_add_u64 v[8:9], v[0:1], 2, v[8:9]
	s_mov_b64 s[6:7], 0
	v_lshl_add_u64 v[10:11], s[4:5], 0, v[12:13]
	v_lshl_add_u64 v[12:13], s[8:9], 0, v[12:13]
	v_mov_b32_e32 v3, 0
	v_cmp_ne_u32_e64 s[0:1], 1, v7
	s_branch .LBB106_11
.LBB106_9:                              ;   in Loop: Header=BB106_11 Depth=1
	global_load_dwordx2 v[16:17], v[12:13], off
	s_waitcnt vmcnt(0)
	v_xor_b32_e32 v18, v16, v17
	v_ffbh_i32_e32 v7, v17
	v_ashrrev_i32_e32 v18, 31, v18
	v_add_u32_e32 v7, -1, v7
	v_add_u32_e32 v18, 32, v18
	v_min_u32_e32 v7, v7, v18
	v_lshlrev_b64 v[16:17], v7, v[16:17]
	v_min_u32_e32 v16, 1, v16
	v_or_b32_e32 v16, v17, v16
	v_cvt_f32_i32_e32 v16, v16
	v_sub_u32_e32 v7, 32, v7
	v_ldexp_f32 v7, v16, v7
	v_div_scale_f32 v16, s[4:5], v7, v7, 1.0
	v_rcp_f32_e32 v17, v16
	v_div_scale_f32 v18, vcc, 1.0, v7, 1.0
	v_fma_f32 v19, -v16, v17, 1.0
	v_fmac_f32_e32 v17, v19, v17
	v_mul_f32_e32 v19, v18, v17
	v_fma_f32 v20, -v16, v19, v18
	v_fmac_f32_e32 v19, v20, v17
	v_fma_f32 v16, -v16, v19, v18
	v_div_fmas_f32 v16, v16, v17, v19
	v_div_fixup_f32 v7, v16, v7, 1.0
.LBB106_10:                             ;   in Loop: Header=BB106_11 Depth=1
	s_waitcnt vmcnt(0)
	v_mul_lo_u32 v16, v15, s12
	v_mul_lo_u32 v17, v14, s13
	v_mad_u64_u32 v[14:15], s[4:5], v14, s12, 0
	v_add3_u32 v15, v15, v17, v16
	v_lshl_add_u64 v[14:15], v[14:15], 2, v[8:9]
	global_load_dword v14, v[14:15], off
	v_add_u32_e32 v2, 1, v2
	v_cmp_ge_i32_e32 vcc, v2, v6
	v_lshl_add_u64 v[10:11], v[10:11], 0, 8
	s_or_b64 s[6:7], vcc, s[6:7]
	v_lshl_add_u64 v[12:13], v[12:13], 0, 8
	s_waitcnt vmcnt(0)
	v_fmac_f32_e32 v3, v7, v14
	s_andn2_b64 exec, exec, s[6:7]
	s_cbranch_execz .LBB106_13
.LBB106_11:                             ; =>This Inner Loop Header: Depth=1
	global_load_dwordx2 v[14:15], v[10:11], off
	s_and_b64 vcc, exec, s[0:1]
	s_cbranch_vccz .LBB106_9
; %bb.12:                               ;   in Loop: Header=BB106_11 Depth=1
	v_mov_b32_e32 v7, 1.0
	s_branch .LBB106_10
.LBB106_13:
	s_or_b64 exec, exec, s[6:7]
.LBB106_14:
	s_or_b64 exec, exec, s[2:3]
	v_mul_lo_u32 v2, v5, s12
	v_mul_lo_u32 v8, v4, s13
	v_mad_u64_u32 v[4:5], s[0:1], v4, s12, 0
	v_mov_b32_e32 v6, s18
	v_mov_b32_e32 v7, s19
	v_add3_u32 v5, v5, v8, v2
	v_lshl_add_u64 v[4:5], v[4:5], 2, v[6:7]
	v_lshl_add_u64 v[0:1], v[0:1], 2, v[4:5]
	global_store_dword v[0:1], v3, off
.LBB106_15:
	s_endpgm
	.section	.rodata,"a",@progbits
	.p2align	6, 0x0
	.amdhsa_kernel _ZN2at6native12_GLOBAL__N_119compute_grad_weightIflEEvPKT0_PKT_S5_llS5_PKlPNS_14AccumulateTypeIS6_Lb1EE4typeEl
		.amdhsa_group_segment_fixed_size 0
		.amdhsa_private_segment_fixed_size 0
		.amdhsa_kernarg_size 328
		.amdhsa_user_sgpr_count 2
		.amdhsa_user_sgpr_dispatch_ptr 0
		.amdhsa_user_sgpr_queue_ptr 0
		.amdhsa_user_sgpr_kernarg_segment_ptr 1
		.amdhsa_user_sgpr_dispatch_id 0
		.amdhsa_user_sgpr_kernarg_preload_length 0
		.amdhsa_user_sgpr_kernarg_preload_offset 0
		.amdhsa_user_sgpr_private_segment_size 0
		.amdhsa_uses_dynamic_stack 0
		.amdhsa_enable_private_segment 0
		.amdhsa_system_sgpr_workgroup_id_x 1
		.amdhsa_system_sgpr_workgroup_id_y 0
		.amdhsa_system_sgpr_workgroup_id_z 0
		.amdhsa_system_sgpr_workgroup_info 0
		.amdhsa_system_vgpr_workitem_id 0
		.amdhsa_next_free_vgpr 21
		.amdhsa_next_free_sgpr 26
		.amdhsa_accum_offset 24
		.amdhsa_reserve_vcc 1
		.amdhsa_float_round_mode_32 0
		.amdhsa_float_round_mode_16_64 0
		.amdhsa_float_denorm_mode_32 3
		.amdhsa_float_denorm_mode_16_64 3
		.amdhsa_dx10_clamp 1
		.amdhsa_ieee_mode 1
		.amdhsa_fp16_overflow 0
		.amdhsa_tg_split 0
		.amdhsa_exception_fp_ieee_invalid_op 0
		.amdhsa_exception_fp_denorm_src 0
		.amdhsa_exception_fp_ieee_div_zero 0
		.amdhsa_exception_fp_ieee_overflow 0
		.amdhsa_exception_fp_ieee_underflow 0
		.amdhsa_exception_fp_ieee_inexact 0
		.amdhsa_exception_int_div_zero 0
	.end_amdhsa_kernel
	.section	.text._ZN2at6native12_GLOBAL__N_119compute_grad_weightIflEEvPKT0_PKT_S5_llS5_PKlPNS_14AccumulateTypeIS6_Lb1EE4typeEl,"axG",@progbits,_ZN2at6native12_GLOBAL__N_119compute_grad_weightIflEEvPKT0_PKT_S5_llS5_PKlPNS_14AccumulateTypeIS6_Lb1EE4typeEl,comdat
.Lfunc_end106:
	.size	_ZN2at6native12_GLOBAL__N_119compute_grad_weightIflEEvPKT0_PKT_S5_llS5_PKlPNS_14AccumulateTypeIS6_Lb1EE4typeEl, .Lfunc_end106-_ZN2at6native12_GLOBAL__N_119compute_grad_weightIflEEvPKT0_PKT_S5_llS5_PKlPNS_14AccumulateTypeIS6_Lb1EE4typeEl
                                        ; -- End function
	.section	.AMDGPU.csdata,"",@progbits
; Kernel info:
; codeLenInByte = 1508
; NumSgprs: 32
; NumVgprs: 21
; NumAgprs: 0
; TotalNumVgprs: 21
; ScratchSize: 0
; MemoryBound: 0
; FloatMode: 240
; IeeeMode: 1
; LDSByteSize: 0 bytes/workgroup (compile time only)
; SGPRBlocks: 3
; VGPRBlocks: 2
; NumSGPRsForWavesPerEU: 32
; NumVGPRsForWavesPerEU: 21
; AccumOffset: 24
; Occupancy: 8
; WaveLimiterHint : 1
; COMPUTE_PGM_RSRC2:SCRATCH_EN: 0
; COMPUTE_PGM_RSRC2:USER_SGPR: 2
; COMPUTE_PGM_RSRC2:TRAP_HANDLER: 0
; COMPUTE_PGM_RSRC2:TGID_X_EN: 1
; COMPUTE_PGM_RSRC2:TGID_Y_EN: 0
; COMPUTE_PGM_RSRC2:TGID_Z_EN: 0
; COMPUTE_PGM_RSRC2:TIDIG_COMP_CNT: 0
; COMPUTE_PGM_RSRC3_GFX90A:ACCUM_OFFSET: 5
; COMPUTE_PGM_RSRC3_GFX90A:TG_SPLIT: 0
	.section	.text._ZN2at6native12_GLOBAL__N_115sum_and_scatterIflEEvPKT0_PT_lS5_PKlPKNS_14AccumulateTypeIS6_Lb1EE4typeES5_S9_ll,"axG",@progbits,_ZN2at6native12_GLOBAL__N_115sum_and_scatterIflEEvPKT0_PT_lS5_PKlPKNS_14AccumulateTypeIS6_Lb1EE4typeES5_S9_ll,comdat
	.globl	_ZN2at6native12_GLOBAL__N_115sum_and_scatterIflEEvPKT0_PT_lS5_PKlPKNS_14AccumulateTypeIS6_Lb1EE4typeES5_S9_ll ; -- Begin function _ZN2at6native12_GLOBAL__N_115sum_and_scatterIflEEvPKT0_PT_lS5_PKlPKNS_14AccumulateTypeIS6_Lb1EE4typeES5_S9_ll
	.p2align	8
	.type	_ZN2at6native12_GLOBAL__N_115sum_and_scatterIflEEvPKT0_PT_lS5_PKlPKNS_14AccumulateTypeIS6_Lb1EE4typeES5_S9_ll,@function
_ZN2at6native12_GLOBAL__N_115sum_and_scatterIflEEvPKT0_PT_lS5_PKlPKNS_14AccumulateTypeIS6_Lb1EE4typeES5_S9_ll: ; @_ZN2at6native12_GLOBAL__N_115sum_and_scatterIflEEvPKT0_PT_lS5_PKlPKNS_14AccumulateTypeIS6_Lb1EE4typeES5_S9_ll
; %bb.0:
	s_load_dword s3, s[0:1], 0x5c
	s_load_dwordx4 s[20:23], s[0:1], 0x40
	s_load_dwordx16 s[4:19], s[0:1], 0x0
	v_mov_b32_e32 v1, 0
	v_mov_b32_e32 v2, s2
	s_waitcnt lgkmcnt(0)
	s_and_b32 s0, s3, 0xffff
	v_mad_u64_u32 v[2:3], s[0:1], s0, v2, v[0:1]
	v_or_b32_e32 v5, s23, v3
	v_mov_b32_e32 v4, v1
	v_cmp_ne_u64_e32 vcc, 0, v[4:5]
                                        ; implicit-def: $vgpr4_vgpr5
	s_and_saveexec_b64 s[0:1], vcc
	s_xor_b64 s[2:3], exec, s[0:1]
	s_cbranch_execz .LBB107_2
; %bb.1:
	s_ashr_i32 s24, s23, 31
	s_add_u32 s0, s22, s24
	s_mov_b32 s25, s24
	s_addc_u32 s1, s23, s24
	s_xor_b64 s[26:27], s[0:1], s[24:25]
	v_cvt_f32_u32_e32 v0, s26
	v_cvt_f32_u32_e32 v4, s27
	s_sub_u32 s0, 0, s26
	s_subb_u32 s1, 0, s27
	v_fmamk_f32 v0, v4, 0x4f800000, v0
	v_rcp_f32_e32 v0, v0
	s_nop 0
	v_mul_f32_e32 v0, 0x5f7ffffc, v0
	v_mul_f32_e32 v4, 0x2f800000, v0
	v_trunc_f32_e32 v4, v4
	v_fmamk_f32 v0, v4, 0xcf800000, v0
	v_cvt_u32_f32_e32 v6, v4
	v_cvt_u32_f32_e32 v7, v0
	v_mul_lo_u32 v0, s0, v6
	v_mul_hi_u32 v5, s0, v7
	v_mul_lo_u32 v4, s1, v7
	v_add_u32_e32 v0, v5, v0
	v_mul_lo_u32 v8, s0, v7
	v_add_u32_e32 v9, v0, v4
	v_mul_hi_u32 v5, v7, v9
	v_mul_lo_u32 v4, v7, v9
	v_mul_hi_u32 v0, v7, v8
	v_lshl_add_u64 v[4:5], v[0:1], 0, v[4:5]
	v_mul_hi_u32 v0, v6, v8
	v_mul_lo_u32 v8, v6, v8
	v_add_co_u32_e32 v4, vcc, v4, v8
	v_mul_hi_u32 v10, v6, v9
	s_nop 0
	v_addc_co_u32_e32 v0, vcc, v5, v0, vcc
	v_mul_lo_u32 v4, v6, v9
	s_nop 0
	v_addc_co_u32_e32 v5, vcc, 0, v10, vcc
	v_lshl_add_u64 v[4:5], v[0:1], 0, v[4:5]
	v_add_co_u32_e32 v7, vcc, v7, v4
	v_mul_hi_u32 v4, s0, v7
	s_nop 0
	v_addc_co_u32_e32 v6, vcc, v6, v5, vcc
	v_mul_lo_u32 v0, s0, v6
	v_add_u32_e32 v0, v4, v0
	v_mul_lo_u32 v4, s1, v7
	v_add_u32_e32 v8, v0, v4
	v_mul_lo_u32 v0, s0, v7
	v_mul_hi_u32 v10, v6, v0
	v_mul_lo_u32 v11, v6, v0
	v_mul_hi_u32 v5, v7, v8
	;; [unrolled: 2-line block ×3, first 2 shown]
	v_lshl_add_u64 v[4:5], v[0:1], 0, v[4:5]
	v_add_co_u32_e32 v0, vcc, v4, v11
	v_mul_hi_u32 v9, v6, v8
	s_nop 0
	v_addc_co_u32_e32 v0, vcc, v5, v10, vcc
	v_mul_lo_u32 v4, v6, v8
	s_nop 0
	v_addc_co_u32_e32 v5, vcc, 0, v9, vcc
	v_lshl_add_u64 v[4:5], v[0:1], 0, v[4:5]
	v_add_co_u32_e32 v10, vcc, v7, v4
	v_ashrrev_i32_e32 v4, 31, v3
	s_nop 0
	v_addc_co_u32_e32 v8, vcc, v6, v5, vcc
	v_mov_b32_e32 v5, v4
	v_lshl_add_u64 v[6:7], v[2:3], 0, v[4:5]
	v_xor_b32_e32 v12, v6, v4
	v_xor_b32_e32 v5, v7, v4
	v_mad_u64_u32 v[6:7], s[0:1], v12, v8, 0
	v_mul_hi_u32 v0, v12, v10
	v_lshl_add_u64 v[6:7], v[0:1], 0, v[6:7]
	v_mad_u64_u32 v[10:11], s[0:1], v5, v10, 0
	v_add_co_u32_e32 v0, vcc, v6, v10
	v_mad_u64_u32 v[8:9], s[0:1], v5, v8, 0
	s_nop 0
	v_addc_co_u32_e32 v0, vcc, v7, v11, vcc
	s_nop 1
	v_addc_co_u32_e32 v9, vcc, 0, v9, vcc
	v_lshl_add_u64 v[0:1], v[0:1], 0, v[8:9]
	v_mul_lo_u32 v8, s27, v0
	v_mul_lo_u32 v9, s26, v1
	v_mad_u64_u32 v[6:7], s[0:1], s26, v0, 0
	v_add3_u32 v10, v7, v9, v8
	v_sub_u32_e32 v7, v5, v10
	v_mov_b32_e32 v8, s27
	v_sub_co_u32_e32 v11, vcc, v12, v6
	s_nop 1
	v_subb_co_u32_e64 v6, s[0:1], v7, v8, vcc
	v_subrev_co_u32_e64 v7, s[0:1], s26, v11
	v_subb_co_u32_e32 v5, vcc, v5, v10, vcc
	s_nop 0
	v_subbrev_co_u32_e64 v6, s[0:1], 0, v6, s[0:1]
	v_cmp_le_u32_e64 s[0:1], s27, v6
	v_cmp_le_u32_e32 vcc, s27, v5
	s_nop 0
	v_cndmask_b32_e64 v8, 0, -1, s[0:1]
	v_cmp_le_u32_e64 s[0:1], s26, v7
	s_nop 1
	v_cndmask_b32_e64 v7, 0, -1, s[0:1]
	v_cmp_eq_u32_e64 s[0:1], s27, v6
	s_nop 1
	v_cndmask_b32_e64 v12, v8, v7, s[0:1]
	v_lshl_add_u64 v[6:7], v[0:1], 0, 2
	v_lshl_add_u64 v[8:9], v[0:1], 0, 1
	v_cmp_ne_u32_e64 s[0:1], 0, v12
	s_nop 1
	v_cndmask_b32_e64 v7, v9, v7, s[0:1]
	v_cndmask_b32_e64 v9, 0, -1, vcc
	v_cmp_le_u32_e32 vcc, s26, v11
	s_nop 1
	v_cndmask_b32_e64 v10, 0, -1, vcc
	v_cmp_eq_u32_e32 vcc, s27, v5
	s_nop 1
	v_cndmask_b32_e32 v5, v9, v10, vcc
	v_cmp_ne_u32_e32 vcc, 0, v5
	v_cndmask_b32_e64 v5, v8, v6, s[0:1]
	s_nop 0
	v_cndmask_b32_e32 v0, v0, v5, vcc
	v_xor_b32_e32 v5, s24, v4
	v_cndmask_b32_e32 v1, v1, v7, vcc
	v_xor_b32_e32 v0, v0, v5
	v_xor_b32_e32 v1, v1, v5
	v_sub_co_u32_e32 v4, vcc, v0, v5
	s_nop 1
	v_subb_co_u32_e32 v5, vcc, v1, v5, vcc
.LBB107_2:
	s_or_saveexec_b64 s[0:1], s[2:3]
	s_load_dwordx2 s[2:3], s[12:13], 0x0
	s_xor_b64 exec, exec, s[0:1]
	s_cbranch_execz .LBB107_4
; %bb.3:
	v_cvt_f32_u32_e32 v0, s22
	s_sub_i32 s12, 0, s22
	v_rcp_iflag_f32_e32 v0, v0
	s_nop 0
	v_mul_f32_e32 v0, 0x4f7ffffe, v0
	v_cvt_u32_f32_e32 v0, v0
	v_mul_lo_u32 v1, s12, v0
	v_mul_hi_u32 v1, v0, v1
	v_add_u32_e32 v0, v0, v1
	v_mul_hi_u32 v0, v2, v0
	v_mul_lo_u32 v1, v0, s22
	v_sub_u32_e32 v1, v2, v1
	v_add_u32_e32 v4, 1, v0
	v_subrev_u32_e32 v5, s22, v1
	v_cmp_le_u32_e32 vcc, s22, v1
	s_nop 1
	v_cndmask_b32_e32 v1, v1, v5, vcc
	v_cndmask_b32_e32 v0, v0, v4, vcc
	v_add_u32_e32 v4, 1, v0
	v_cmp_le_u32_e32 vcc, s22, v1
	v_mov_b32_e32 v5, 0
	s_nop 0
	v_cndmask_b32_e32 v4, v0, v4, vcc
.LBB107_4:
	s_or_b64 exec, exec, s[0:1]
	v_mul_lo_u32 v0, v5, s22
	v_mul_lo_u32 v1, v4, s23
	v_mad_u64_u32 v[6:7], s[0:1], v4, s22, 0
	v_add3_u32 v7, v7, v1, v0
	v_sub_co_u32_e32 v0, vcc, v2, v6
	s_waitcnt lgkmcnt(0)
	v_cmp_gt_i64_e64 s[0:1], s[2:3], v[4:5]
	v_subb_co_u32_e32 v1, vcc, v3, v7, vcc
	v_cmp_gt_i64_e32 vcc, s[8:9], v[0:1]
	s_and_b64 s[0:1], vcc, s[0:1]
	s_and_saveexec_b64 s[12:13], s[0:1]
	s_cbranch_execz .LBB107_11
; %bb.5:
	v_mov_b32_e32 v8, s16
	v_mov_b32_e32 v9, s17
	s_add_u32 s0, s2, -1
	v_lshl_add_u64 v[10:11], v[4:5], 3, v[8:9]
	s_addc_u32 s1, s3, -1
	global_load_dword v9, v[10:11], off
	v_lshl_add_u64 v[10:11], v[10:11], 0, 8
	v_mov_b32_e32 v8, s19
	v_cmp_eq_u64_e32 vcc, s[0:1], v[4:5]
	s_nop 1
	v_cndmask_b32_e32 v11, v11, v8, vcc
	v_mov_b32_e32 v8, s18
	v_cndmask_b32_e32 v10, v10, v8, vcc
	global_load_dword v10, v[10:11], off
	v_mov_b32_e32 v8, 0
	s_waitcnt vmcnt(0)
	v_cmp_lt_i32_e32 vcc, v9, v10
	s_and_saveexec_b64 s[0:1], vcc
	s_cbranch_execz .LBB107_9
; %bb.6:
	v_ashrrev_i32_e32 v8, 31, v9
	v_mul_lo_u32 v11, s9, v9
	v_mul_lo_u32 v8, s8, v8
	v_mad_u64_u32 v[12:13], s[2:3], s8, v9, 0
	v_add3_u32 v13, v13, v8, v11
	v_lshlrev_b64 v[2:3], 2, v[2:3]
	v_lshl_add_u64 v[2:3], v[12:13], 2, v[2:3]
	v_lshlrev_b64 v[6:7], 2, v[6:7]
	v_sub_co_u32_e32 v2, vcc, v2, v6
	s_lshl_b64 s[12:13], s[8:9], 2
	s_nop 0
	v_subb_co_u32_e32 v3, vcc, v3, v7, vcc
	v_lshl_add_u64 v[2:3], s[14:15], 0, v[2:3]
	s_mov_b64 s[2:3], 0
	v_mov_b32_e32 v8, 0
.LBB107_7:                              ; =>This Inner Loop Header: Depth=1
	global_load_dword v6, v[2:3], off
	v_add_u32_e32 v9, 1, v9
	v_cmp_ge_i32_e32 vcc, v9, v10
	v_lshl_add_u64 v[2:3], v[2:3], 0, s[12:13]
	s_or_b64 s[2:3], vcc, s[2:3]
	s_waitcnt vmcnt(0)
	v_add_f32_e32 v8, v8, v6
	s_andn2_b64 exec, exec, s[2:3]
	s_cbranch_execnz .LBB107_7
; %bb.8:
	s_or_b64 exec, exec, s[2:3]
.LBB107_9:
	s_or_b64 exec, exec, s[0:1]
	v_mov_b32_e32 v2, s10
	v_mov_b32_e32 v3, s11
	v_lshl_add_u64 v[2:3], v[4:5], 3, v[2:3]
	global_load_dwordx2 v[2:3], v[2:3], off
	v_mov_b32_e32 v4, s4
	v_mov_b32_e32 v5, s5
	s_waitcnt vmcnt(0)
	v_lshl_add_u64 v[2:3], v[2:3], 3, v[4:5]
	global_load_dwordx2 v[2:3], v[2:3], off
	s_waitcnt vmcnt(0)
	v_cmp_ne_u64_e32 vcc, s[20:21], v[2:3]
	s_and_b64 exec, exec, vcc
	s_cbranch_execz .LBB107_11
; %bb.10:
	v_mul_lo_u32 v6, v3, s8
	v_mul_lo_u32 v7, v2, s9
	v_mad_u64_u32 v[2:3], s[0:1], v2, s8, 0
	v_mov_b32_e32 v4, s6
	v_mov_b32_e32 v5, s7
	v_add3_u32 v3, v3, v7, v6
	v_lshl_add_u64 v[2:3], v[2:3], 2, v[4:5]
	v_lshl_add_u64 v[0:1], v[0:1], 2, v[2:3]
	global_store_dword v[0:1], v8, off
.LBB107_11:
	s_endpgm
	.section	.rodata,"a",@progbits
	.p2align	6, 0x0
	.amdhsa_kernel _ZN2at6native12_GLOBAL__N_115sum_and_scatterIflEEvPKT0_PT_lS5_PKlPKNS_14AccumulateTypeIS6_Lb1EE4typeES5_S9_ll
		.amdhsa_group_segment_fixed_size 0
		.amdhsa_private_segment_fixed_size 0
		.amdhsa_kernarg_size 336
		.amdhsa_user_sgpr_count 2
		.amdhsa_user_sgpr_dispatch_ptr 0
		.amdhsa_user_sgpr_queue_ptr 0
		.amdhsa_user_sgpr_kernarg_segment_ptr 1
		.amdhsa_user_sgpr_dispatch_id 0
		.amdhsa_user_sgpr_kernarg_preload_length 0
		.amdhsa_user_sgpr_kernarg_preload_offset 0
		.amdhsa_user_sgpr_private_segment_size 0
		.amdhsa_uses_dynamic_stack 0
		.amdhsa_enable_private_segment 0
		.amdhsa_system_sgpr_workgroup_id_x 1
		.amdhsa_system_sgpr_workgroup_id_y 0
		.amdhsa_system_sgpr_workgroup_id_z 0
		.amdhsa_system_sgpr_workgroup_info 0
		.amdhsa_system_vgpr_workitem_id 0
		.amdhsa_next_free_vgpr 14
		.amdhsa_next_free_sgpr 28
		.amdhsa_accum_offset 16
		.amdhsa_reserve_vcc 1
		.amdhsa_float_round_mode_32 0
		.amdhsa_float_round_mode_16_64 0
		.amdhsa_float_denorm_mode_32 3
		.amdhsa_float_denorm_mode_16_64 3
		.amdhsa_dx10_clamp 1
		.amdhsa_ieee_mode 1
		.amdhsa_fp16_overflow 0
		.amdhsa_tg_split 0
		.amdhsa_exception_fp_ieee_invalid_op 0
		.amdhsa_exception_fp_denorm_src 0
		.amdhsa_exception_fp_ieee_div_zero 0
		.amdhsa_exception_fp_ieee_overflow 0
		.amdhsa_exception_fp_ieee_underflow 0
		.amdhsa_exception_fp_ieee_inexact 0
		.amdhsa_exception_int_div_zero 0
	.end_amdhsa_kernel
	.section	.text._ZN2at6native12_GLOBAL__N_115sum_and_scatterIflEEvPKT0_PT_lS5_PKlPKNS_14AccumulateTypeIS6_Lb1EE4typeES5_S9_ll,"axG",@progbits,_ZN2at6native12_GLOBAL__N_115sum_and_scatterIflEEvPKT0_PT_lS5_PKlPKNS_14AccumulateTypeIS6_Lb1EE4typeES5_S9_ll,comdat
.Lfunc_end107:
	.size	_ZN2at6native12_GLOBAL__N_115sum_and_scatterIflEEvPKT0_PT_lS5_PKlPKNS_14AccumulateTypeIS6_Lb1EE4typeES5_S9_ll, .Lfunc_end107-_ZN2at6native12_GLOBAL__N_115sum_and_scatterIflEEvPKT0_PT_lS5_PKlPKNS_14AccumulateTypeIS6_Lb1EE4typeES5_S9_ll
                                        ; -- End function
	.section	.AMDGPU.csdata,"",@progbits
; Kernel info:
; codeLenInByte = 1384
; NumSgprs: 34
; NumVgprs: 14
; NumAgprs: 0
; TotalNumVgprs: 14
; ScratchSize: 0
; MemoryBound: 0
; FloatMode: 240
; IeeeMode: 1
; LDSByteSize: 0 bytes/workgroup (compile time only)
; SGPRBlocks: 4
; VGPRBlocks: 1
; NumSGPRsForWavesPerEU: 34
; NumVGPRsForWavesPerEU: 14
; AccumOffset: 16
; Occupancy: 8
; WaveLimiterHint : 1
; COMPUTE_PGM_RSRC2:SCRATCH_EN: 0
; COMPUTE_PGM_RSRC2:USER_SGPR: 2
; COMPUTE_PGM_RSRC2:TRAP_HANDLER: 0
; COMPUTE_PGM_RSRC2:TGID_X_EN: 1
; COMPUTE_PGM_RSRC2:TGID_Y_EN: 0
; COMPUTE_PGM_RSRC2:TGID_Z_EN: 0
; COMPUTE_PGM_RSRC2:TIDIG_COMP_CNT: 0
; COMPUTE_PGM_RSRC3_GFX90A:ACCUM_OFFSET: 3
; COMPUTE_PGM_RSRC3_GFX90A:TG_SPLIT: 0
	.section	.text._ZN2at6native12_GLOBAL__N_137compute_grad_weight_atomic_accumulateIN3c104HalfEflEEvPKT1_PKT_S7_llS7_PKlS7_S7_S7_PT0_ll,"axG",@progbits,_ZN2at6native12_GLOBAL__N_137compute_grad_weight_atomic_accumulateIN3c104HalfEflEEvPKT1_PKT_S7_llS7_PKlS7_S7_S7_PT0_ll,comdat
	.globl	_ZN2at6native12_GLOBAL__N_137compute_grad_weight_atomic_accumulateIN3c104HalfEflEEvPKT1_PKT_S7_llS7_PKlS7_S7_S7_PT0_ll ; -- Begin function _ZN2at6native12_GLOBAL__N_137compute_grad_weight_atomic_accumulateIN3c104HalfEflEEvPKT1_PKT_S7_llS7_PKlS7_S7_S7_PT0_ll
	.p2align	8
	.type	_ZN2at6native12_GLOBAL__N_137compute_grad_weight_atomic_accumulateIN3c104HalfEflEEvPKT1_PKT_S7_llS7_PKlS7_S7_S7_PT0_ll,@function
_ZN2at6native12_GLOBAL__N_137compute_grad_weight_atomic_accumulateIN3c104HalfEflEEvPKT1_PKT_S7_llS7_PKlS7_S7_S7_PT0_ll: ; @_ZN2at6native12_GLOBAL__N_137compute_grad_weight_atomic_accumulateIN3c104HalfEflEEvPKT1_PKT_S7_llS7_PKlS7_S7_S7_PT0_ll
; %bb.0:
	s_load_dword s3, s[0:1], 0x74
	s_load_dwordx2 s[20:21], s[0:1], 0x60
	v_mov_b32_e32 v4, 0
	s_waitcnt lgkmcnt(0)
	s_and_b32 s3, s3, 0xffff
	s_mul_i32 s2, s2, s3
	v_add_u32_e32 v2, s2, v0
	v_ashrrev_i32_e32 v3, 31, v2
	v_or_b32_e32 v5, s21, v3
	v_cmp_ne_u64_e32 vcc, 0, v[4:5]
                                        ; implicit-def: $vgpr0_vgpr1
	s_and_saveexec_b64 s[2:3], vcc
	s_xor_b64 s[4:5], exec, s[2:3]
	s_cbranch_execz .LBB108_2
; %bb.1:
	s_ashr_i32 s6, s21, 31
	s_add_u32 s2, s20, s6
	s_mov_b32 s7, s6
	s_addc_u32 s3, s21, s6
	s_xor_b64 s[8:9], s[2:3], s[6:7]
	v_cvt_f32_u32_e32 v0, s8
	v_cvt_f32_u32_e32 v1, s9
	s_sub_u32 s2, 0, s8
	s_subb_u32 s3, 0, s9
	v_mov_b32_e32 v7, v4
	v_fmamk_f32 v0, v1, 0x4f800000, v0
	v_rcp_f32_e32 v0, v0
	s_nop 0
	v_mul_f32_e32 v0, 0x5f7ffffc, v0
	v_mul_f32_e32 v1, 0x2f800000, v0
	v_trunc_f32_e32 v1, v1
	v_fmamk_f32 v0, v1, 0xcf800000, v0
	v_cvt_u32_f32_e32 v5, v1
	v_cvt_u32_f32_e32 v8, v0
	v_mul_lo_u32 v0, s2, v5
	v_mul_hi_u32 v6, s2, v8
	v_mul_lo_u32 v1, s3, v8
	v_add_u32_e32 v0, v6, v0
	v_mul_lo_u32 v9, s2, v8
	v_add_u32_e32 v10, v0, v1
	v_mul_hi_u32 v1, v8, v10
	v_mul_lo_u32 v0, v8, v10
	v_mul_hi_u32 v6, v8, v9
	v_lshl_add_u64 v[0:1], v[6:7], 0, v[0:1]
	v_mul_hi_u32 v7, v5, v9
	v_mul_lo_u32 v9, v5, v9
	v_add_co_u32_e32 v0, vcc, v0, v9
	v_mul_hi_u32 v6, v5, v10
	s_nop 0
	v_addc_co_u32_e32 v0, vcc, v1, v7, vcc
	v_mov_b32_e32 v1, v4
	s_nop 0
	v_addc_co_u32_e32 v7, vcc, 0, v6, vcc
	v_mul_lo_u32 v6, v5, v10
	v_lshl_add_u64 v[0:1], v[0:1], 0, v[6:7]
	v_add_co_u32_e32 v8, vcc, v8, v0
	v_mul_lo_u32 v6, s2, v8
	s_nop 0
	v_addc_co_u32_e32 v5, vcc, v5, v1, vcc
	v_mul_lo_u32 v0, s2, v5
	v_mul_hi_u32 v1, s2, v8
	v_add_u32_e32 v0, v1, v0
	v_mul_lo_u32 v1, s3, v8
	v_add_u32_e32 v9, v0, v1
	v_mul_hi_u32 v11, v5, v6
	v_mul_lo_u32 v12, v5, v6
	v_mul_hi_u32 v1, v8, v9
	v_mul_lo_u32 v0, v8, v9
	v_mul_hi_u32 v6, v8, v6
	v_mov_b32_e32 v7, v4
	v_lshl_add_u64 v[0:1], v[6:7], 0, v[0:1]
	v_add_co_u32_e32 v0, vcc, v0, v12
	v_mul_hi_u32 v10, v5, v9
	s_nop 0
	v_addc_co_u32_e32 v0, vcc, v1, v11, vcc
	v_mul_lo_u32 v6, v5, v9
	s_nop 0
	v_addc_co_u32_e32 v7, vcc, 0, v10, vcc
	v_mov_b32_e32 v1, v4
	v_lshl_add_u64 v[0:1], v[0:1], 0, v[6:7]
	v_add_co_u32_e32 v10, vcc, v8, v0
	v_mov_b32_e32 v0, v3
	s_nop 0
	v_addc_co_u32_e32 v5, vcc, v5, v1, vcc
	v_mov_b32_e32 v1, v3
	v_lshl_add_u64 v[6:7], v[2:3], 0, v[0:1]
	v_xor_b32_e32 v13, v6, v0
	v_xor_b32_e32 v12, v7, v1
	v_mad_u64_u32 v[6:7], s[2:3], v13, v5, 0
	v_mul_hi_u32 v8, v13, v10
	v_mov_b32_e32 v9, v4
	v_lshl_add_u64 v[6:7], v[8:9], 0, v[6:7]
	v_mad_u64_u32 v[10:11], s[2:3], v12, v10, 0
	v_mad_u64_u32 v[8:9], s[2:3], v12, v5, 0
	v_add_co_u32_e32 v5, vcc, v6, v10
	v_xor_b32_e32 v0, s6, v0
	s_nop 0
	v_addc_co_u32_e32 v6, vcc, v7, v11, vcc
	v_mov_b32_e32 v7, v4
	s_nop 0
	v_addc_co_u32_e32 v9, vcc, 0, v9, vcc
	v_lshl_add_u64 v[4:5], v[6:7], 0, v[8:9]
	v_mul_lo_u32 v8, s9, v4
	v_mul_lo_u32 v9, s8, v5
	v_mad_u64_u32 v[6:7], s[2:3], s8, v4, 0
	v_add3_u32 v10, v7, v9, v8
	v_sub_u32_e32 v7, v12, v10
	v_mov_b32_e32 v8, s9
	v_sub_co_u32_e32 v11, vcc, v13, v6
	v_xor_b32_e32 v1, s6, v1
	s_nop 0
	v_subb_co_u32_e64 v6, s[2:3], v7, v8, vcc
	v_subrev_co_u32_e64 v7, s[2:3], s8, v11
	s_nop 1
	v_subbrev_co_u32_e64 v6, s[2:3], 0, v6, s[2:3]
	v_cmp_le_u32_e64 s[2:3], s9, v6
	s_nop 1
	v_cndmask_b32_e64 v8, 0, -1, s[2:3]
	v_cmp_le_u32_e64 s[2:3], s8, v7
	s_nop 1
	v_cndmask_b32_e64 v7, 0, -1, s[2:3]
	v_cmp_eq_u32_e64 s[2:3], s9, v6
	s_nop 1
	v_cndmask_b32_e64 v13, v8, v7, s[2:3]
	v_lshl_add_u64 v[6:7], v[4:5], 0, 2
	v_lshl_add_u64 v[8:9], v[4:5], 0, 1
	v_cmp_ne_u32_e64 s[2:3], 0, v13
	s_nop 1
	v_cndmask_b32_e64 v7, v9, v7, s[2:3]
	v_subb_co_u32_e32 v9, vcc, v12, v10, vcc
	v_cmp_le_u32_e32 vcc, s9, v9
	v_cndmask_b32_e64 v6, v8, v6, s[2:3]
	s_nop 0
	v_cndmask_b32_e64 v10, 0, -1, vcc
	v_cmp_le_u32_e32 vcc, s8, v11
	s_nop 1
	v_cndmask_b32_e64 v11, 0, -1, vcc
	v_cmp_eq_u32_e32 vcc, s9, v9
	s_nop 1
	v_cndmask_b32_e32 v9, v10, v11, vcc
	v_cmp_ne_u32_e32 vcc, 0, v9
	s_nop 1
	v_cndmask_b32_e32 v4, v4, v6, vcc
	v_cndmask_b32_e32 v5, v5, v7, vcc
	v_xor_b32_e32 v4, v4, v0
	v_xor_b32_e32 v5, v5, v1
	v_sub_co_u32_e32 v0, vcc, v4, v0
	s_nop 1
	v_subb_co_u32_e32 v1, vcc, v5, v1, vcc
.LBB108_2:
	s_or_saveexec_b64 s[2:3], s[4:5]
	s_load_dwordx16 s[4:19], s[0:1], 0x0
	s_xor_b64 exec, exec, s[2:3]
	s_cbranch_execz .LBB108_4
; %bb.3:
	v_cvt_f32_u32_e32 v0, s20
	s_sub_i32 s22, 0, s20
	v_rcp_iflag_f32_e32 v0, v0
	s_nop 0
	v_mul_f32_e32 v0, 0x4f7ffffe, v0
	v_cvt_u32_f32_e32 v0, v0
	v_mul_lo_u32 v1, s22, v0
	v_mul_hi_u32 v1, v0, v1
	v_add_u32_e32 v0, v0, v1
	v_mul_hi_u32 v0, v2, v0
	v_mul_lo_u32 v1, v0, s20
	v_sub_u32_e32 v1, v2, v1
	v_add_u32_e32 v4, 1, v0
	v_subrev_u32_e32 v5, s20, v1
	v_cmp_le_u32_e32 vcc, s20, v1
	s_nop 1
	v_cndmask_b32_e32 v1, v1, v5, vcc
	v_cndmask_b32_e32 v0, v0, v4, vcc
	v_add_u32_e32 v4, 1, v0
	v_cmp_le_u32_e32 vcc, s20, v1
	v_mov_b32_e32 v1, 0
	s_nop 0
	v_cndmask_b32_e32 v0, v0, v4, vcc
.LBB108_4:
	s_or_b64 exec, exec, s[2:3]
	v_mul_lo_u32 v1, v1, s20
	v_mul_lo_u32 v6, v0, s21
	v_mad_u64_u32 v[4:5], s[2:3], v0, s20, 0
	v_add3_u32 v1, v5, v6, v1
	v_sub_co_u32_e32 v2, vcc, v2, v4
	s_nop 1
	v_subb_co_u32_e32 v3, vcc, v3, v1, vcc
	s_waitcnt lgkmcnt(0)
	v_cmp_gt_i64_e32 vcc, s[12:13], v[2:3]
	s_and_saveexec_b64 s[2:3], vcc
	s_cbranch_execz .LBB108_17
; %bb.5:
	s_load_dwordx2 s[2:3], s[16:17], 0x0
	v_ashrrev_i32_e32 v1, 31, v0
	s_waitcnt lgkmcnt(0)
	v_cmp_gt_i64_e32 vcc, s[2:3], v[0:1]
	s_and_b64 exec, exec, vcc
	s_cbranch_execz .LBB108_17
; %bb.6:
	v_lshl_add_u64 v[4:5], v[0:1], 3, s[14:15]
	global_load_dwordx2 v[4:5], v[4:5], off
	s_load_dwordx8 s[20:27], s[0:1], 0x40
	s_add_u32 s0, s2, -1
	s_addc_u32 s1, s3, -1
	v_cmp_ne_u64_e32 vcc, s[0:1], v[0:1]
	v_mov_b64_e32 v[6:7], s[10:11]
	s_and_saveexec_b64 s[0:1], vcc
	s_cbranch_execz .LBB108_8
; %bb.7:
	s_mov_b32 s2, 0
	v_mov_b32_e32 v6, 0
	v_mov_b32_e32 v7, v0
	s_mov_b32 s3, 1
	v_lshl_add_u64 v[6:7], v[6:7], 0, s[2:3]
	v_ashrrev_i64 v[6:7], 29, v[6:7]
	v_lshl_add_u64 v[6:7], s[14:15], 0, v[6:7]
	global_load_dwordx2 v[6:7], v[6:7], off
.LBB108_8:
	s_or_b64 exec, exec, s[0:1]
	s_waitcnt vmcnt(0)
	v_cmp_lt_i64_e32 vcc, v[4:5], v[6:7]
	v_mov_b32_e32 v16, 0
	s_and_saveexec_b64 s[2:3], vcc
	s_cbranch_execz .LBB108_15
; %bb.9:
	s_cmp_lg_u64 s[8:9], 0
	s_cselect_b64 s[0:1], -1, 0
	v_mov_b32_e32 v8, s6
	v_mov_b32_e32 v9, s7
	v_lshlrev_b64 v[12:13], 3, v[4:5]
	v_cndmask_b32_e64 v14, 0, 1, s[0:1]
	v_lshl_add_u64 v[8:9], v[2:3], 1, v[8:9]
	s_mov_b64 s[6:7], 0
	v_lshl_add_u64 v[10:11], s[8:9], 0, v[12:13]
	v_lshl_add_u64 v[12:13], s[4:5], 0, v[12:13]
	v_mov_b32_e32 v16, 0
	v_cmp_ne_u32_e64 s[0:1], 1, v14
	s_branch .LBB108_12
.LBB108_10:                             ;   in Loop: Header=BB108_12 Depth=1
	global_load_dwordx2 v[18:19], v[10:11], off
	s_waitcnt vmcnt(0)
	v_xor_b32_e32 v20, v18, v19
	v_ffbh_i32_e32 v17, v19
	v_ashrrev_i32_e32 v20, 31, v20
	v_add_u32_e32 v17, -1, v17
	v_add_u32_e32 v20, 32, v20
	v_min_u32_e32 v17, v17, v20
	v_lshlrev_b64 v[18:19], v17, v[18:19]
	v_min_u32_e32 v18, 1, v18
	v_or_b32_e32 v18, v19, v18
	v_cvt_f32_i32_e32 v18, v18
	v_sub_u32_e32 v17, 32, v17
	v_ldexp_f32 v17, v18, v17
	v_div_scale_f32 v18, s[4:5], v17, v17, 1.0
	v_rcp_f32_e32 v19, v18
	v_div_scale_f32 v20, vcc, 1.0, v17, 1.0
	v_fma_f32 v21, -v18, v19, 1.0
	v_fmac_f32_e32 v19, v21, v19
	v_mul_f32_e32 v21, v20, v19
	v_fma_f32 v22, -v18, v21, v20
	v_fmac_f32_e32 v21, v22, v19
	v_fma_f32 v18, -v18, v21, v20
	v_div_fmas_f32 v18, v18, v19, v21
	v_div_fixup_f32 v17, v18, v17, 1.0
.LBB108_11:                             ;   in Loop: Header=BB108_12 Depth=1
	s_waitcnt vmcnt(0)
	v_mul_lo_u32 v18, v15, s12
	v_mul_lo_u32 v19, v14, s13
	v_mad_u64_u32 v[14:15], s[4:5], v14, s12, 0
	v_add3_u32 v15, v15, v19, v18
	v_lshl_add_u64 v[14:15], v[14:15], 1, v[8:9]
	global_load_ushort v14, v[14:15], off
	v_lshl_add_u64 v[4:5], v[4:5], 0, 1
	v_cmp_ge_i64_e32 vcc, v[4:5], v[6:7]
	v_lshl_add_u64 v[10:11], v[10:11], 0, 8
	s_or_b64 s[6:7], vcc, s[6:7]
	v_lshl_add_u64 v[12:13], v[12:13], 0, 8
	s_waitcnt vmcnt(0)
	v_fma_mix_f32 v16, v17, v14, v16 op_sel_hi:[0,1,0]
	s_andn2_b64 exec, exec, s[6:7]
	s_cbranch_execz .LBB108_14
.LBB108_12:                             ; =>This Inner Loop Header: Depth=1
	global_load_dwordx2 v[14:15], v[12:13], off
	s_and_b64 vcc, exec, s[0:1]
	s_cbranch_vccz .LBB108_10
; %bb.13:                               ;   in Loop: Header=BB108_12 Depth=1
	v_mov_b32_e32 v17, 1.0
	s_branch .LBB108_11
.LBB108_14:
	s_or_b64 exec, exec, s[6:7]
.LBB108_15:
	s_or_b64 exec, exec, s[2:3]
	s_waitcnt lgkmcnt(0)
	v_mov_b32_e32 v4, s20
	v_mov_b32_e32 v5, s21
	v_lshl_add_u64 v[0:1], v[0:1], 3, v[4:5]
	global_load_dwordx2 v[0:1], v[0:1], off
	v_mov_b32_e32 v4, s22
	v_mov_b32_e32 v5, s23
	s_waitcnt vmcnt(0)
	v_lshl_add_u64 v[0:1], v[0:1], 3, v[4:5]
	global_load_dwordx2 v[0:1], v[0:1], off
	v_mov_b32_e32 v4, s18
	v_mov_b32_e32 v5, s19
	s_waitcnt vmcnt(0)
	v_lshl_add_u64 v[0:1], v[0:1], 3, v[4:5]
	global_load_dwordx2 v[0:1], v[0:1], off
	s_waitcnt vmcnt(0)
	v_cmp_ne_u64_e32 vcc, s[26:27], v[0:1]
	s_and_b64 exec, exec, vcc
	s_cbranch_execz .LBB108_17
; %bb.16:
	v_mul_lo_u32 v6, v1, s12
	v_mul_lo_u32 v7, v0, s13
	v_mad_u64_u32 v[0:1], s[0:1], v0, s12, 0
	v_mov_b32_e32 v4, s24
	v_mov_b32_e32 v5, s25
	v_add3_u32 v1, v1, v7, v6
	v_lshl_add_u64 v[0:1], v[0:1], 2, v[4:5]
	v_lshl_add_u64 v[0:1], v[2:3], 2, v[0:1]
	global_atomic_add_f32 v[0:1], v16, off
.LBB108_17:
	s_endpgm
	.section	.rodata,"a",@progbits
	.p2align	6, 0x0
	.amdhsa_kernel _ZN2at6native12_GLOBAL__N_137compute_grad_weight_atomic_accumulateIN3c104HalfEflEEvPKT1_PKT_S7_llS7_PKlS7_S7_S7_PT0_ll
		.amdhsa_group_segment_fixed_size 0
		.amdhsa_private_segment_fixed_size 0
		.amdhsa_kernarg_size 360
		.amdhsa_user_sgpr_count 2
		.amdhsa_user_sgpr_dispatch_ptr 0
		.amdhsa_user_sgpr_queue_ptr 0
		.amdhsa_user_sgpr_kernarg_segment_ptr 1
		.amdhsa_user_sgpr_dispatch_id 0
		.amdhsa_user_sgpr_kernarg_preload_length 0
		.amdhsa_user_sgpr_kernarg_preload_offset 0
		.amdhsa_user_sgpr_private_segment_size 0
		.amdhsa_uses_dynamic_stack 0
		.amdhsa_enable_private_segment 0
		.amdhsa_system_sgpr_workgroup_id_x 1
		.amdhsa_system_sgpr_workgroup_id_y 0
		.amdhsa_system_sgpr_workgroup_id_z 0
		.amdhsa_system_sgpr_workgroup_info 0
		.amdhsa_system_vgpr_workitem_id 0
		.amdhsa_next_free_vgpr 23
		.amdhsa_next_free_sgpr 28
		.amdhsa_accum_offset 24
		.amdhsa_reserve_vcc 1
		.amdhsa_float_round_mode_32 0
		.amdhsa_float_round_mode_16_64 0
		.amdhsa_float_denorm_mode_32 3
		.amdhsa_float_denorm_mode_16_64 3
		.amdhsa_dx10_clamp 1
		.amdhsa_ieee_mode 1
		.amdhsa_fp16_overflow 0
		.amdhsa_tg_split 0
		.amdhsa_exception_fp_ieee_invalid_op 0
		.amdhsa_exception_fp_denorm_src 0
		.amdhsa_exception_fp_ieee_div_zero 0
		.amdhsa_exception_fp_ieee_overflow 0
		.amdhsa_exception_fp_ieee_underflow 0
		.amdhsa_exception_fp_ieee_inexact 0
		.amdhsa_exception_int_div_zero 0
	.end_amdhsa_kernel
	.section	.text._ZN2at6native12_GLOBAL__N_137compute_grad_weight_atomic_accumulateIN3c104HalfEflEEvPKT1_PKT_S7_llS7_PKlS7_S7_S7_PT0_ll,"axG",@progbits,_ZN2at6native12_GLOBAL__N_137compute_grad_weight_atomic_accumulateIN3c104HalfEflEEvPKT1_PKT_S7_llS7_PKlS7_S7_S7_PT0_ll,comdat
.Lfunc_end108:
	.size	_ZN2at6native12_GLOBAL__N_137compute_grad_weight_atomic_accumulateIN3c104HalfEflEEvPKT1_PKT_S7_llS7_PKlS7_S7_S7_PT0_ll, .Lfunc_end108-_ZN2at6native12_GLOBAL__N_137compute_grad_weight_atomic_accumulateIN3c104HalfEflEEvPKT1_PKT_S7_llS7_PKlS7_S7_S7_PT0_ll
                                        ; -- End function
	.section	.AMDGPU.csdata,"",@progbits
; Kernel info:
; codeLenInByte = 1692
; NumSgprs: 34
; NumVgprs: 23
; NumAgprs: 0
; TotalNumVgprs: 23
; ScratchSize: 0
; MemoryBound: 0
; FloatMode: 240
; IeeeMode: 1
; LDSByteSize: 0 bytes/workgroup (compile time only)
; SGPRBlocks: 4
; VGPRBlocks: 2
; NumSGPRsForWavesPerEU: 34
; NumVGPRsForWavesPerEU: 23
; AccumOffset: 24
; Occupancy: 8
; WaveLimiterHint : 1
; COMPUTE_PGM_RSRC2:SCRATCH_EN: 0
; COMPUTE_PGM_RSRC2:USER_SGPR: 2
; COMPUTE_PGM_RSRC2:TRAP_HANDLER: 0
; COMPUTE_PGM_RSRC2:TGID_X_EN: 1
; COMPUTE_PGM_RSRC2:TGID_Y_EN: 0
; COMPUTE_PGM_RSRC2:TGID_Z_EN: 0
; COMPUTE_PGM_RSRC2:TIDIG_COMP_CNT: 0
; COMPUTE_PGM_RSRC3_GFX90A:ACCUM_OFFSET: 5
; COMPUTE_PGM_RSRC3_GFX90A:TG_SPLIT: 0
	.section	.text._ZN2at6native12_GLOBAL__N_124compute_grad_weight_bagsIN3c104HalfElEEvPKT0_PKT_S7_S7_lliS7_SA_lS7_PKlPNS_14AccumulateTypeIS8_Lb1EE4typeEl,"axG",@progbits,_ZN2at6native12_GLOBAL__N_124compute_grad_weight_bagsIN3c104HalfElEEvPKT0_PKT_S7_S7_lliS7_SA_lS7_PKlPNS_14AccumulateTypeIS8_Lb1EE4typeEl,comdat
	.globl	_ZN2at6native12_GLOBAL__N_124compute_grad_weight_bagsIN3c104HalfElEEvPKT0_PKT_S7_S7_lliS7_SA_lS7_PKlPNS_14AccumulateTypeIS8_Lb1EE4typeEl ; -- Begin function _ZN2at6native12_GLOBAL__N_124compute_grad_weight_bagsIN3c104HalfElEEvPKT0_PKT_S7_S7_lliS7_SA_lS7_PKlPNS_14AccumulateTypeIS8_Lb1EE4typeEl
	.p2align	8
	.type	_ZN2at6native12_GLOBAL__N_124compute_grad_weight_bagsIN3c104HalfElEEvPKT0_PKT_S7_S7_lliS7_SA_lS7_PKlPNS_14AccumulateTypeIS8_Lb1EE4typeEl,@function
_ZN2at6native12_GLOBAL__N_124compute_grad_weight_bagsIN3c104HalfElEEvPKT0_PKT_S7_S7_lliS7_SA_lS7_PKlPNS_14AccumulateTypeIS8_Lb1EE4typeEl: ; @_ZN2at6native12_GLOBAL__N_124compute_grad_weight_bagsIN3c104HalfElEEvPKT0_PKT_S7_S7_lliS7_SA_lS7_PKlPNS_14AccumulateTypeIS8_Lb1EE4typeEl
; %bb.0:
	s_load_dword s3, s[0:1], 0x7c
	s_load_dwordx4 s[4:7], s[0:1], 0x58
	s_load_dwordx2 s[8:9], s[0:1], 0x68
	v_mov_b32_e32 v1, 0
	v_mov_b32_e32 v2, s2
	s_waitcnt lgkmcnt(0)
	s_and_b32 s3, s3, 0xffff
	v_mad_u64_u32 v[4:5], s[2:3], s3, v2, v[0:1]
	v_or_b32_e32 v3, s9, v5
	v_mov_b32_e32 v2, v1
	v_cmp_ne_u64_e32 vcc, 0, v[2:3]
                                        ; implicit-def: $vgpr2_vgpr3
	s_and_saveexec_b64 s[2:3], vcc
	s_xor_b64 s[10:11], exec, s[2:3]
	s_cbranch_execz .LBB109_2
; %bb.1:
	s_ashr_i32 s12, s9, 31
	s_add_u32 s2, s8, s12
	s_mov_b32 s13, s12
	s_addc_u32 s3, s9, s12
	s_xor_b64 s[14:15], s[2:3], s[12:13]
	v_cvt_f32_u32_e32 v0, s14
	v_cvt_f32_u32_e32 v2, s15
	s_sub_u32 s2, 0, s14
	s_subb_u32 s3, 0, s15
	v_fmamk_f32 v0, v2, 0x4f800000, v0
	v_rcp_f32_e32 v0, v0
	s_nop 0
	v_mul_f32_e32 v0, 0x5f7ffffc, v0
	v_mul_f32_e32 v2, 0x2f800000, v0
	v_trunc_f32_e32 v2, v2
	v_fmamk_f32 v0, v2, 0xcf800000, v0
	v_cvt_u32_f32_e32 v6, v2
	v_cvt_u32_f32_e32 v7, v0
	v_mul_lo_u32 v0, s2, v6
	v_mul_hi_u32 v3, s2, v7
	v_mul_lo_u32 v2, s3, v7
	v_add_u32_e32 v0, v3, v0
	v_mul_lo_u32 v8, s2, v7
	v_add_u32_e32 v9, v0, v2
	v_mul_hi_u32 v3, v7, v9
	v_mul_lo_u32 v2, v7, v9
	v_mul_hi_u32 v0, v7, v8
	v_lshl_add_u64 v[2:3], v[0:1], 0, v[2:3]
	v_mul_hi_u32 v0, v6, v8
	v_mul_lo_u32 v8, v6, v8
	v_add_co_u32_e32 v2, vcc, v2, v8
	v_mul_hi_u32 v10, v6, v9
	s_nop 0
	v_addc_co_u32_e32 v0, vcc, v3, v0, vcc
	v_mul_lo_u32 v2, v6, v9
	s_nop 0
	v_addc_co_u32_e32 v3, vcc, 0, v10, vcc
	v_lshl_add_u64 v[2:3], v[0:1], 0, v[2:3]
	v_add_co_u32_e32 v7, vcc, v7, v2
	v_mul_hi_u32 v2, s2, v7
	s_nop 0
	v_addc_co_u32_e32 v6, vcc, v6, v3, vcc
	v_mul_lo_u32 v0, s2, v6
	v_add_u32_e32 v0, v2, v0
	v_mul_lo_u32 v2, s3, v7
	v_add_u32_e32 v8, v0, v2
	v_mul_lo_u32 v0, s2, v7
	v_mul_hi_u32 v10, v6, v0
	v_mul_lo_u32 v11, v6, v0
	v_mul_hi_u32 v3, v7, v8
	v_mul_lo_u32 v2, v7, v8
	v_mul_hi_u32 v0, v7, v0
	v_lshl_add_u64 v[2:3], v[0:1], 0, v[2:3]
	v_add_co_u32_e32 v0, vcc, v2, v11
	v_mul_hi_u32 v9, v6, v8
	s_nop 0
	v_addc_co_u32_e32 v0, vcc, v3, v10, vcc
	v_mul_lo_u32 v2, v6, v8
	s_nop 0
	v_addc_co_u32_e32 v3, vcc, 0, v9, vcc
	v_lshl_add_u64 v[2:3], v[0:1], 0, v[2:3]
	v_add_co_u32_e32 v10, vcc, v7, v2
	v_ashrrev_i32_e32 v2, 31, v5
	s_nop 0
	v_addc_co_u32_e32 v8, vcc, v6, v3, vcc
	v_mov_b32_e32 v3, v2
	v_lshl_add_u64 v[6:7], v[4:5], 0, v[2:3]
	v_xor_b32_e32 v12, v6, v2
	v_xor_b32_e32 v3, v7, v2
	v_mad_u64_u32 v[6:7], s[2:3], v12, v8, 0
	v_mul_hi_u32 v0, v12, v10
	v_lshl_add_u64 v[6:7], v[0:1], 0, v[6:7]
	v_mad_u64_u32 v[10:11], s[2:3], v3, v10, 0
	v_add_co_u32_e32 v0, vcc, v6, v10
	v_mad_u64_u32 v[8:9], s[2:3], v3, v8, 0
	s_nop 0
	v_addc_co_u32_e32 v0, vcc, v7, v11, vcc
	s_nop 1
	v_addc_co_u32_e32 v9, vcc, 0, v9, vcc
	v_lshl_add_u64 v[0:1], v[0:1], 0, v[8:9]
	v_mul_lo_u32 v8, s15, v0
	v_mul_lo_u32 v9, s14, v1
	v_mad_u64_u32 v[6:7], s[2:3], s14, v0, 0
	v_add3_u32 v10, v7, v9, v8
	v_sub_u32_e32 v7, v3, v10
	v_mov_b32_e32 v8, s15
	v_sub_co_u32_e32 v11, vcc, v12, v6
	s_nop 1
	v_subb_co_u32_e64 v6, s[2:3], v7, v8, vcc
	v_subrev_co_u32_e64 v7, s[2:3], s14, v11
	v_subb_co_u32_e32 v3, vcc, v3, v10, vcc
	s_nop 0
	v_subbrev_co_u32_e64 v6, s[2:3], 0, v6, s[2:3]
	v_cmp_le_u32_e64 s[2:3], s15, v6
	v_cmp_le_u32_e32 vcc, s15, v3
	s_nop 0
	v_cndmask_b32_e64 v8, 0, -1, s[2:3]
	v_cmp_le_u32_e64 s[2:3], s14, v7
	s_nop 1
	v_cndmask_b32_e64 v7, 0, -1, s[2:3]
	v_cmp_eq_u32_e64 s[2:3], s15, v6
	s_nop 1
	v_cndmask_b32_e64 v12, v8, v7, s[2:3]
	v_lshl_add_u64 v[6:7], v[0:1], 0, 2
	v_lshl_add_u64 v[8:9], v[0:1], 0, 1
	v_cmp_ne_u32_e64 s[2:3], 0, v12
	s_nop 1
	v_cndmask_b32_e64 v7, v9, v7, s[2:3]
	v_cndmask_b32_e64 v9, 0, -1, vcc
	v_cmp_le_u32_e32 vcc, s14, v11
	s_nop 1
	v_cndmask_b32_e64 v10, 0, -1, vcc
	v_cmp_eq_u32_e32 vcc, s15, v3
	s_nop 1
	v_cndmask_b32_e32 v3, v9, v10, vcc
	v_cmp_ne_u32_e32 vcc, 0, v3
	v_cndmask_b32_e64 v3, v8, v6, s[2:3]
	s_nop 0
	v_cndmask_b32_e32 v0, v0, v3, vcc
	v_xor_b32_e32 v3, s12, v2
	v_cndmask_b32_e32 v1, v1, v7, vcc
	v_xor_b32_e32 v0, v0, v3
	v_xor_b32_e32 v1, v1, v3
	v_sub_co_u32_e32 v2, vcc, v0, v3
	s_nop 1
	v_subb_co_u32_e32 v3, vcc, v1, v3, vcc
.LBB109_2:
	s_or_saveexec_b64 s[2:3], s[10:11]
	s_load_dwordx2 s[4:5], s[4:5], 0x0
	s_xor_b64 exec, exec, s[2:3]
	s_cbranch_execz .LBB109_4
; %bb.3:
	v_cvt_f32_u32_e32 v0, s8
	s_sub_i32 s10, 0, s8
	v_rcp_iflag_f32_e32 v0, v0
	s_nop 0
	v_mul_f32_e32 v0, 0x4f7ffffe, v0
	v_cvt_u32_f32_e32 v0, v0
	v_mul_lo_u32 v1, s10, v0
	v_mul_hi_u32 v1, v0, v1
	v_add_u32_e32 v0, v0, v1
	v_mul_hi_u32 v0, v4, v0
	v_mul_lo_u32 v1, v0, s8
	v_sub_u32_e32 v1, v4, v1
	v_add_u32_e32 v2, 1, v0
	v_subrev_u32_e32 v3, s8, v1
	v_cmp_le_u32_e32 vcc, s8, v1
	s_nop 1
	v_cndmask_b32_e32 v1, v1, v3, vcc
	v_cndmask_b32_e32 v0, v0, v2, vcc
	v_add_u32_e32 v2, 1, v0
	v_cmp_le_u32_e32 vcc, s8, v1
	v_mov_b32_e32 v3, 0
	s_nop 0
	v_cndmask_b32_e32 v2, v0, v2, vcc
.LBB109_4:
	s_or_b64 exec, exec, s[2:3]
	s_load_dwordx4 s[24:27], s[0:1], 0x20
	v_mul_lo_u32 v6, v3, s8
	v_mul_lo_u32 v7, v2, s9
	v_mad_u64_u32 v[0:1], s[2:3], v2, s8, 0
	v_add3_u32 v1, v1, v7, v6
	v_sub_co_u32_e32 v0, vcc, v4, v0
	s_waitcnt lgkmcnt(0)
	v_cmp_gt_i64_e64 s[2:3], s[4:5], v[2:3]
	v_subb_co_u32_e32 v1, vcc, v5, v1, vcc
	v_cmp_gt_i64_e32 vcc, s[26:27], v[0:1]
	s_and_b64 s[2:3], vcc, s[2:3]
	s_and_saveexec_b64 s[8:9], s[2:3]
	s_cbranch_execz .LBB109_18
; %bb.5:
	s_load_dwordx8 s[8:15], s[0:1], 0x38
	s_load_dwordx8 s[16:23], s[0:1], 0x0
	s_add_u32 s2, s4, -1
	s_addc_u32 s3, s5, -1
	v_cmp_ne_u64_e32 vcc, s[2:3], v[2:3]
	s_waitcnt lgkmcnt(0)
	v_mov_b32_e32 v4, s14
	v_mov_b32_e32 v5, s15
	v_lshl_add_u64 v[8:9], v[2:3], 3, v[4:5]
	global_load_dwordx2 v[4:5], v[8:9], off
	v_mov_b64_e32 v[6:7], s[24:25]
	s_and_saveexec_b64 s[2:3], vcc
	s_cbranch_execz .LBB109_7
; %bb.6:
	global_load_dwordx2 v[6:7], v[8:9], off offset:8
.LBB109_7:
	s_or_b64 exec, exec, s[2:3]
	s_waitcnt vmcnt(0)
	v_cmp_lt_i32_e32 vcc, v4, v6
	v_mov_b32_e32 v5, 0
	s_and_saveexec_b64 s[14:15], vcc
	s_cbranch_execz .LBB109_17
; %bb.8:
	s_load_dword s4, s[0:1], 0x30
	s_cmp_lg_u64 s[22:23], 0
	s_cselect_b64 s[0:1], -1, 0
	s_cmp_lg_u64 s[10:11], 0
	v_ashrrev_i32_e32 v5, 31, v4
	s_cselect_b64 s[2:3], -1, 0
	s_waitcnt lgkmcnt(0)
	s_cmp_lg_u32 s4, 0
	v_lshlrev_b64 v[12:13], 3, v[4:5]
	v_cndmask_b32_e64 v5, 0, 1, s[0:1]
	v_cmp_ne_u32_e64 s[0:1], 1, v5
	v_cndmask_b32_e64 v5, 0, 1, s[2:3]
	s_cselect_b64 s[4:5], -1, 0
	v_mov_b32_e32 v8, s18
	v_mov_b32_e32 v9, s19
	v_cmp_ne_u32_e64 s[2:3], 1, v5
	v_cndmask_b32_e64 v5, 0, 1, s[4:5]
	v_lshl_add_u64 v[8:9], v[0:1], 1, v[8:9]
	s_mov_b64 s[18:19], 0
	s_mov_b32 s24, s26
	v_lshl_add_u64 v[10:11], s[16:17], 0, v[12:13]
	v_lshl_add_u64 v[12:13], s[22:23], 0, v[12:13]
	v_mov_b32_e32 v14, 0
	v_cmp_ne_u32_e64 s[4:5], 1, v5
	v_mov_b32_e32 v5, 0
	s_branch .LBB109_10
.LBB109_9:                              ;   in Loop: Header=BB109_10 Depth=1
	v_add_u32_e32 v4, 1, v4
	v_cmp_ge_i32_e32 vcc, v4, v6
	v_fmac_f32_e32 v5, v7, v17
	v_lshl_add_u64 v[10:11], v[10:11], 0, 8
	s_or_b64 s[18:19], vcc, s[18:19]
	v_lshl_add_u64 v[12:13], v[12:13], 0, 8
	s_andn2_b64 exec, exec, s[18:19]
	s_cbranch_execz .LBB109_16
.LBB109_10:                             ; =>This Inner Loop Header: Depth=1
	global_load_dword v18, v[10:11], off
	s_and_b64 vcc, exec, s[0:1]
	s_waitcnt vmcnt(0)
	v_ashrrev_i32_e32 v19, 31, v18
	v_lshl_add_u64 v[16:17], v[18:19], 3, s[20:21]
	global_load_dwordx2 v[16:17], v[16:17], off
	s_cbranch_vccnz .LBB109_15
; %bb.11:                               ;   in Loop: Header=BB109_10 Depth=1
	global_load_dwordx2 v[20:21], v[12:13], off
	s_waitcnt vmcnt(0)
	v_cvt_f64_i32_e32 v[22:23], v21
	v_cvt_f64_u32_e32 v[20:21], v20
	v_ldexp_f64 v[22:23], v[22:23], 32
	v_add_f64 v[20:21], v[22:23], v[20:21]
	v_div_scale_f64 v[22:23], s[16:17], v[20:21], v[20:21], 1.0
	v_rcp_f64_e32 v[24:25], v[22:23]
	v_div_scale_f64 v[26:27], vcc, 1.0, v[20:21], 1.0
	v_fma_f64 v[28:29], -v[22:23], v[24:25], 1.0
	v_fmac_f64_e32 v[24:25], v[24:25], v[28:29]
	v_fma_f64 v[28:29], -v[22:23], v[24:25], 1.0
	v_fmac_f64_e32 v[24:25], v[24:25], v[28:29]
	v_mul_f64 v[28:29], v[26:27], v[24:25]
	v_fma_f64 v[22:23], -v[22:23], v[28:29], v[26:27]
	v_div_fmas_f64 v[22:23], v[22:23], v[24:25], v[28:29]
	v_div_fixup_f64 v[20:21], v[22:23], v[20:21], 1.0
	s_and_b64 vcc, exec, s[2:3]
	v_cvt_f32_f64_e32 v7, v[20:21]
	s_cbranch_vccnz .LBB109_13
.LBB109_12:                             ;   in Loop: Header=BB109_10 Depth=1
	v_mul_lo_u32 v15, v19, s12
	v_mul_lo_u32 v20, v18, s13
	v_mad_u64_u32 v[18:19], s[16:17], v18, s12, 0
	v_add3_u32 v19, v19, v20, v15
	v_lshl_add_u64 v[18:19], v[18:19], 1, s[10:11]
	global_load_ushort v15, v[18:19], off
	s_waitcnt vmcnt(0)
	v_cvt_f32_f16_e32 v15, v15
	v_mul_f32_e32 v7, v7, v15
.LBB109_13:                             ;   in Loop: Header=BB109_10 Depth=1
	s_waitcnt vmcnt(0)
	v_mul_lo_u32 v15, s24, v16
	v_mul_lo_u32 v17, 0, v17
	v_mad_u64_u32 v[18:19], s[16:17], 0, v16, 0
	v_add3_u32 v19, v19, v17, v15
	v_ashrrev_i64 v[18:19], 31, v[18:19]
	v_lshl_add_u64 v[18:19], v[8:9], 0, v[18:19]
	global_load_ushort v15, v[18:19], off
	s_and_b64 vcc, exec, s[4:5]
	s_waitcnt vmcnt(0)
	v_cvt_f32_f16_e32 v17, v15
	s_cbranch_vccnz .LBB109_9
; %bb.14:                               ;   in Loop: Header=BB109_10 Depth=1
	v_mov_b32_e32 v15, v16
	v_ashrrev_i64 v[18:19], 29, v[14:15]
	v_lshl_add_u64 v[18:19], s[8:9], 0, v[18:19]
	global_load_dwordx2 v[18:19], v[18:19], off
	s_waitcnt vmcnt(0)
	v_xor_b32_e32 v15, v18, v19
	v_ffbh_i32_e32 v16, v19
	v_ashrrev_i32_e32 v15, 31, v15
	v_add_u32_e32 v16, -1, v16
	v_add_u32_e32 v15, 32, v15
	v_min_u32_e32 v15, v16, v15
	v_lshlrev_b64 v[18:19], v15, v[18:19]
	v_min_u32_e32 v16, 1, v18
	v_or_b32_e32 v16, v19, v16
	v_cvt_f32_i32_e32 v16, v16
	v_sub_u32_e32 v15, 32, v15
	v_ldexp_f32 v15, v16, v15
	v_div_scale_f32 v16, s[16:17], v15, v15, v17
	v_rcp_f32_e32 v18, v16
	v_div_scale_f32 v19, vcc, v17, v15, v17
	v_fma_f32 v20, -v16, v18, 1.0
	v_fmac_f32_e32 v18, v20, v18
	v_mul_f32_e32 v20, v19, v18
	v_fma_f32 v21, -v16, v20, v19
	v_fmac_f32_e32 v20, v21, v18
	v_fma_f32 v16, -v16, v20, v19
	v_div_fmas_f32 v16, v16, v18, v20
	v_div_fixup_f32 v17, v16, v15, v17
	s_branch .LBB109_9
.LBB109_15:                             ;   in Loop: Header=BB109_10 Depth=1
	v_mov_b64_e32 v[20:21], 1.0
	s_and_b64 vcc, exec, s[2:3]
	v_cvt_f32_f64_e32 v7, v[20:21]
	s_cbranch_vccz .LBB109_12
	s_branch .LBB109_13
.LBB109_16:
	s_or_b64 exec, exec, s[18:19]
.LBB109_17:
	s_or_b64 exec, exec, s[14:15]
	v_mul_lo_u32 v4, v3, s26
	v_mul_lo_u32 v8, v2, s27
	v_mad_u64_u32 v[2:3], s[0:1], v2, s26, 0
	v_mov_b32_e32 v6, s6
	v_mov_b32_e32 v7, s7
	v_add3_u32 v3, v3, v8, v4
	v_lshl_add_u64 v[2:3], v[2:3], 2, v[6:7]
	v_lshl_add_u64 v[0:1], v[0:1], 2, v[2:3]
	global_store_dword v[0:1], v5, off
.LBB109_18:
	s_endpgm
	.section	.rodata,"a",@progbits
	.p2align	6, 0x0
	.amdhsa_kernel _ZN2at6native12_GLOBAL__N_124compute_grad_weight_bagsIN3c104HalfElEEvPKT0_PKT_S7_S7_lliS7_SA_lS7_PKlPNS_14AccumulateTypeIS8_Lb1EE4typeEl
		.amdhsa_group_segment_fixed_size 0
		.amdhsa_private_segment_fixed_size 0
		.amdhsa_kernarg_size 368
		.amdhsa_user_sgpr_count 2
		.amdhsa_user_sgpr_dispatch_ptr 0
		.amdhsa_user_sgpr_queue_ptr 0
		.amdhsa_user_sgpr_kernarg_segment_ptr 1
		.amdhsa_user_sgpr_dispatch_id 0
		.amdhsa_user_sgpr_kernarg_preload_length 0
		.amdhsa_user_sgpr_kernarg_preload_offset 0
		.amdhsa_user_sgpr_private_segment_size 0
		.amdhsa_uses_dynamic_stack 0
		.amdhsa_enable_private_segment 0
		.amdhsa_system_sgpr_workgroup_id_x 1
		.amdhsa_system_sgpr_workgroup_id_y 0
		.amdhsa_system_sgpr_workgroup_id_z 0
		.amdhsa_system_sgpr_workgroup_info 0
		.amdhsa_system_vgpr_workitem_id 0
		.amdhsa_next_free_vgpr 30
		.amdhsa_next_free_sgpr 28
		.amdhsa_accum_offset 32
		.amdhsa_reserve_vcc 1
		.amdhsa_float_round_mode_32 0
		.amdhsa_float_round_mode_16_64 0
		.amdhsa_float_denorm_mode_32 3
		.amdhsa_float_denorm_mode_16_64 3
		.amdhsa_dx10_clamp 1
		.amdhsa_ieee_mode 1
		.amdhsa_fp16_overflow 0
		.amdhsa_tg_split 0
		.amdhsa_exception_fp_ieee_invalid_op 0
		.amdhsa_exception_fp_denorm_src 0
		.amdhsa_exception_fp_ieee_div_zero 0
		.amdhsa_exception_fp_ieee_overflow 0
		.amdhsa_exception_fp_ieee_underflow 0
		.amdhsa_exception_fp_ieee_inexact 0
		.amdhsa_exception_int_div_zero 0
	.end_amdhsa_kernel
	.section	.text._ZN2at6native12_GLOBAL__N_124compute_grad_weight_bagsIN3c104HalfElEEvPKT0_PKT_S7_S7_lliS7_SA_lS7_PKlPNS_14AccumulateTypeIS8_Lb1EE4typeEl,"axG",@progbits,_ZN2at6native12_GLOBAL__N_124compute_grad_weight_bagsIN3c104HalfElEEvPKT0_PKT_S7_S7_lliS7_SA_lS7_PKlPNS_14AccumulateTypeIS8_Lb1EE4typeEl,comdat
.Lfunc_end109:
	.size	_ZN2at6native12_GLOBAL__N_124compute_grad_weight_bagsIN3c104HalfElEEvPKT0_PKT_S7_S7_lliS7_SA_lS7_PKlPNS_14AccumulateTypeIS8_Lb1EE4typeEl, .Lfunc_end109-_ZN2at6native12_GLOBAL__N_124compute_grad_weight_bagsIN3c104HalfElEEvPKT0_PKT_S7_S7_lliS7_SA_lS7_PKlPNS_14AccumulateTypeIS8_Lb1EE4typeEl
                                        ; -- End function
	.section	.AMDGPU.csdata,"",@progbits
; Kernel info:
; codeLenInByte = 1868
; NumSgprs: 34
; NumVgprs: 30
; NumAgprs: 0
; TotalNumVgprs: 30
; ScratchSize: 0
; MemoryBound: 0
; FloatMode: 240
; IeeeMode: 1
; LDSByteSize: 0 bytes/workgroup (compile time only)
; SGPRBlocks: 4
; VGPRBlocks: 3
; NumSGPRsForWavesPerEU: 34
; NumVGPRsForWavesPerEU: 30
; AccumOffset: 32
; Occupancy: 8
; WaveLimiterHint : 1
; COMPUTE_PGM_RSRC2:SCRATCH_EN: 0
; COMPUTE_PGM_RSRC2:USER_SGPR: 2
; COMPUTE_PGM_RSRC2:TRAP_HANDLER: 0
; COMPUTE_PGM_RSRC2:TGID_X_EN: 1
; COMPUTE_PGM_RSRC2:TGID_Y_EN: 0
; COMPUTE_PGM_RSRC2:TGID_Z_EN: 0
; COMPUTE_PGM_RSRC2:TIDIG_COMP_CNT: 0
; COMPUTE_PGM_RSRC3_GFX90A:ACCUM_OFFSET: 7
; COMPUTE_PGM_RSRC3_GFX90A:TG_SPLIT: 0
	.section	.text._ZN2at6native12_GLOBAL__N_119compute_grad_weightIN3c104HalfElEEvPKT0_PKT_S7_llS7_PKlPNS_14AccumulateTypeIS8_Lb1EE4typeEl,"axG",@progbits,_ZN2at6native12_GLOBAL__N_119compute_grad_weightIN3c104HalfElEEvPKT0_PKT_S7_llS7_PKlPNS_14AccumulateTypeIS8_Lb1EE4typeEl,comdat
	.globl	_ZN2at6native12_GLOBAL__N_119compute_grad_weightIN3c104HalfElEEvPKT0_PKT_S7_llS7_PKlPNS_14AccumulateTypeIS8_Lb1EE4typeEl ; -- Begin function _ZN2at6native12_GLOBAL__N_119compute_grad_weightIN3c104HalfElEEvPKT0_PKT_S7_llS7_PKlPNS_14AccumulateTypeIS8_Lb1EE4typeEl
	.p2align	8
	.type	_ZN2at6native12_GLOBAL__N_119compute_grad_weightIN3c104HalfElEEvPKT0_PKT_S7_llS7_PKlPNS_14AccumulateTypeIS8_Lb1EE4typeEl,@function
_ZN2at6native12_GLOBAL__N_119compute_grad_weightIN3c104HalfElEEvPKT0_PKT_S7_llS7_PKlPNS_14AccumulateTypeIS8_Lb1EE4typeEl: ; @_ZN2at6native12_GLOBAL__N_119compute_grad_weightIN3c104HalfElEEvPKT0_PKT_S7_llS7_PKlPNS_14AccumulateTypeIS8_Lb1EE4typeEl
; %bb.0:
	s_load_dword s3, s[0:1], 0x54
	s_load_dwordx2 s[20:21], s[0:1], 0x40
	s_load_dwordx16 s[4:19], s[0:1], 0x0
	v_mov_b32_e32 v1, 0
	v_mov_b32_e32 v2, s2
	s_waitcnt lgkmcnt(0)
	s_and_b32 s0, s3, 0xffff
	v_mad_u64_u32 v[2:3], s[0:1], s0, v2, v[0:1]
	v_or_b32_e32 v5, s21, v3
	v_mov_b32_e32 v4, v1
	v_cmp_ne_u64_e32 vcc, 0, v[4:5]
                                        ; implicit-def: $vgpr4_vgpr5
	s_and_saveexec_b64 s[0:1], vcc
	s_xor_b64 s[2:3], exec, s[0:1]
	s_cbranch_execz .LBB110_2
; %bb.1:
	s_ashr_i32 s22, s21, 31
	s_add_u32 s0, s20, s22
	s_mov_b32 s23, s22
	s_addc_u32 s1, s21, s22
	s_xor_b64 s[24:25], s[0:1], s[22:23]
	v_cvt_f32_u32_e32 v0, s24
	v_cvt_f32_u32_e32 v4, s25
	s_sub_u32 s0, 0, s24
	s_subb_u32 s1, 0, s25
	v_fmamk_f32 v0, v4, 0x4f800000, v0
	v_rcp_f32_e32 v0, v0
	s_nop 0
	v_mul_f32_e32 v0, 0x5f7ffffc, v0
	v_mul_f32_e32 v4, 0x2f800000, v0
	v_trunc_f32_e32 v4, v4
	v_fmamk_f32 v0, v4, 0xcf800000, v0
	v_cvt_u32_f32_e32 v6, v4
	v_cvt_u32_f32_e32 v7, v0
	v_mul_lo_u32 v0, s0, v6
	v_mul_hi_u32 v5, s0, v7
	v_mul_lo_u32 v4, s1, v7
	v_add_u32_e32 v0, v5, v0
	v_mul_lo_u32 v8, s0, v7
	v_add_u32_e32 v9, v0, v4
	v_mul_hi_u32 v5, v7, v9
	v_mul_lo_u32 v4, v7, v9
	v_mul_hi_u32 v0, v7, v8
	v_lshl_add_u64 v[4:5], v[0:1], 0, v[4:5]
	v_mul_hi_u32 v0, v6, v8
	v_mul_lo_u32 v8, v6, v8
	v_add_co_u32_e32 v4, vcc, v4, v8
	v_mul_hi_u32 v10, v6, v9
	s_nop 0
	v_addc_co_u32_e32 v0, vcc, v5, v0, vcc
	v_mul_lo_u32 v4, v6, v9
	s_nop 0
	v_addc_co_u32_e32 v5, vcc, 0, v10, vcc
	v_lshl_add_u64 v[4:5], v[0:1], 0, v[4:5]
	v_add_co_u32_e32 v7, vcc, v7, v4
	v_mul_hi_u32 v4, s0, v7
	s_nop 0
	v_addc_co_u32_e32 v6, vcc, v6, v5, vcc
	v_mul_lo_u32 v0, s0, v6
	v_add_u32_e32 v0, v4, v0
	v_mul_lo_u32 v4, s1, v7
	v_add_u32_e32 v8, v0, v4
	v_mul_lo_u32 v0, s0, v7
	v_mul_hi_u32 v10, v6, v0
	v_mul_lo_u32 v11, v6, v0
	v_mul_hi_u32 v5, v7, v8
	;; [unrolled: 2-line block ×3, first 2 shown]
	v_lshl_add_u64 v[4:5], v[0:1], 0, v[4:5]
	v_add_co_u32_e32 v0, vcc, v4, v11
	v_mul_hi_u32 v9, v6, v8
	s_nop 0
	v_addc_co_u32_e32 v0, vcc, v5, v10, vcc
	v_mul_lo_u32 v4, v6, v8
	s_nop 0
	v_addc_co_u32_e32 v5, vcc, 0, v9, vcc
	v_lshl_add_u64 v[4:5], v[0:1], 0, v[4:5]
	v_add_co_u32_e32 v10, vcc, v7, v4
	v_ashrrev_i32_e32 v4, 31, v3
	s_nop 0
	v_addc_co_u32_e32 v8, vcc, v6, v5, vcc
	v_mov_b32_e32 v5, v4
	v_lshl_add_u64 v[6:7], v[2:3], 0, v[4:5]
	v_xor_b32_e32 v12, v6, v4
	v_xor_b32_e32 v5, v7, v4
	v_mad_u64_u32 v[6:7], s[0:1], v12, v8, 0
	v_mul_hi_u32 v0, v12, v10
	v_lshl_add_u64 v[6:7], v[0:1], 0, v[6:7]
	v_mad_u64_u32 v[10:11], s[0:1], v5, v10, 0
	v_add_co_u32_e32 v0, vcc, v6, v10
	v_mad_u64_u32 v[8:9], s[0:1], v5, v8, 0
	s_nop 0
	v_addc_co_u32_e32 v0, vcc, v7, v11, vcc
	s_nop 1
	v_addc_co_u32_e32 v9, vcc, 0, v9, vcc
	v_lshl_add_u64 v[0:1], v[0:1], 0, v[8:9]
	v_mul_lo_u32 v8, s25, v0
	v_mul_lo_u32 v9, s24, v1
	v_mad_u64_u32 v[6:7], s[0:1], s24, v0, 0
	v_add3_u32 v10, v7, v9, v8
	v_sub_u32_e32 v7, v5, v10
	v_mov_b32_e32 v8, s25
	v_sub_co_u32_e32 v11, vcc, v12, v6
	s_nop 1
	v_subb_co_u32_e64 v6, s[0:1], v7, v8, vcc
	v_subrev_co_u32_e64 v7, s[0:1], s24, v11
	v_subb_co_u32_e32 v5, vcc, v5, v10, vcc
	s_nop 0
	v_subbrev_co_u32_e64 v6, s[0:1], 0, v6, s[0:1]
	v_cmp_le_u32_e64 s[0:1], s25, v6
	v_cmp_le_u32_e32 vcc, s25, v5
	s_nop 0
	v_cndmask_b32_e64 v8, 0, -1, s[0:1]
	v_cmp_le_u32_e64 s[0:1], s24, v7
	s_nop 1
	v_cndmask_b32_e64 v7, 0, -1, s[0:1]
	v_cmp_eq_u32_e64 s[0:1], s25, v6
	s_nop 1
	v_cndmask_b32_e64 v12, v8, v7, s[0:1]
	v_lshl_add_u64 v[6:7], v[0:1], 0, 2
	v_lshl_add_u64 v[8:9], v[0:1], 0, 1
	v_cmp_ne_u32_e64 s[0:1], 0, v12
	s_nop 1
	v_cndmask_b32_e64 v7, v9, v7, s[0:1]
	v_cndmask_b32_e64 v9, 0, -1, vcc
	v_cmp_le_u32_e32 vcc, s24, v11
	s_nop 1
	v_cndmask_b32_e64 v10, 0, -1, vcc
	v_cmp_eq_u32_e32 vcc, s25, v5
	s_nop 1
	v_cndmask_b32_e32 v5, v9, v10, vcc
	v_cmp_ne_u32_e32 vcc, 0, v5
	v_cndmask_b32_e64 v5, v8, v6, s[0:1]
	s_nop 0
	v_cndmask_b32_e32 v0, v0, v5, vcc
	v_xor_b32_e32 v5, s22, v4
	v_cndmask_b32_e32 v1, v1, v7, vcc
	v_xor_b32_e32 v0, v0, v5
	v_xor_b32_e32 v1, v1, v5
	v_sub_co_u32_e32 v4, vcc, v0, v5
	s_nop 1
	v_subb_co_u32_e32 v5, vcc, v1, v5, vcc
.LBB110_2:
	s_or_saveexec_b64 s[0:1], s[2:3]
	s_load_dwordx2 s[2:3], s[16:17], 0x0
	s_xor_b64 exec, exec, s[0:1]
	s_cbranch_execz .LBB110_4
; %bb.3:
	v_cvt_f32_u32_e32 v0, s20
	s_sub_i32 s16, 0, s20
	v_rcp_iflag_f32_e32 v0, v0
	s_nop 0
	v_mul_f32_e32 v0, 0x4f7ffffe, v0
	v_cvt_u32_f32_e32 v0, v0
	v_mul_lo_u32 v1, s16, v0
	v_mul_hi_u32 v1, v0, v1
	v_add_u32_e32 v0, v0, v1
	v_mul_hi_u32 v0, v2, v0
	v_mul_lo_u32 v1, v0, s20
	v_sub_u32_e32 v1, v2, v1
	v_add_u32_e32 v4, 1, v0
	v_subrev_u32_e32 v5, s20, v1
	v_cmp_le_u32_e32 vcc, s20, v1
	s_nop 1
	v_cndmask_b32_e32 v1, v1, v5, vcc
	v_cndmask_b32_e32 v0, v0, v4, vcc
	v_add_u32_e32 v4, 1, v0
	v_cmp_le_u32_e32 vcc, s20, v1
	v_mov_b32_e32 v5, 0
	s_nop 0
	v_cndmask_b32_e32 v4, v0, v4, vcc
.LBB110_4:
	s_or_b64 exec, exec, s[0:1]
	v_mul_lo_u32 v6, v5, s20
	v_mul_lo_u32 v7, v4, s21
	v_mad_u64_u32 v[0:1], s[0:1], v4, s20, 0
	v_add3_u32 v1, v1, v7, v6
	v_sub_co_u32_e32 v0, vcc, v2, v0
	s_waitcnt lgkmcnt(0)
	v_cmp_gt_i64_e64 s[0:1], s[2:3], v[4:5]
	v_subb_co_u32_e32 v1, vcc, v3, v1, vcc
	v_cmp_gt_i64_e32 vcc, s[12:13], v[0:1]
	s_and_b64 s[0:1], vcc, s[0:1]
	s_and_saveexec_b64 s[16:17], s[0:1]
	s_cbranch_execz .LBB110_15
; %bb.5:
	v_mov_b32_e32 v2, s14
	v_mov_b32_e32 v3, s15
	v_lshl_add_u64 v[8:9], v[4:5], 3, v[2:3]
	global_load_dwordx2 v[2:3], v[8:9], off
	s_add_u32 s0, s2, -1
	s_addc_u32 s1, s3, -1
	v_cmp_ne_u64_e32 vcc, s[0:1], v[4:5]
	v_mov_b64_e32 v[6:7], s[10:11]
	s_and_saveexec_b64 s[0:1], vcc
	s_cbranch_execz .LBB110_7
; %bb.6:
	global_load_dwordx2 v[6:7], v[8:9], off offset:8
.LBB110_7:
	s_or_b64 exec, exec, s[0:1]
	s_waitcnt vmcnt(0)
	v_cmp_lt_i32_e32 vcc, v2, v6
	v_mov_b32_e32 v3, 0
	s_and_saveexec_b64 s[2:3], vcc
	s_cbranch_execz .LBB110_14
; %bb.8:
	s_cmp_lg_u64 s[8:9], 0
	v_ashrrev_i32_e32 v3, 31, v2
	s_cselect_b64 s[0:1], -1, 0
	v_mov_b32_e32 v8, s6
	v_mov_b32_e32 v9, s7
	v_lshlrev_b64 v[12:13], 3, v[2:3]
	v_cndmask_b32_e64 v7, 0, 1, s[0:1]
	v_lshl_add_u64 v[8:9], v[0:1], 1, v[8:9]
	s_mov_b64 s[6:7], 0
	v_lshl_add_u64 v[10:11], s[4:5], 0, v[12:13]
	v_lshl_add_u64 v[12:13], s[8:9], 0, v[12:13]
	v_mov_b32_e32 v3, 0
	v_cmp_ne_u32_e64 s[0:1], 1, v7
	s_branch .LBB110_11
.LBB110_9:                              ;   in Loop: Header=BB110_11 Depth=1
	global_load_dwordx2 v[16:17], v[12:13], off
	s_waitcnt vmcnt(0)
	v_xor_b32_e32 v18, v16, v17
	v_ffbh_i32_e32 v7, v17
	v_ashrrev_i32_e32 v18, 31, v18
	v_add_u32_e32 v7, -1, v7
	v_add_u32_e32 v18, 32, v18
	v_min_u32_e32 v7, v7, v18
	v_lshlrev_b64 v[16:17], v7, v[16:17]
	v_min_u32_e32 v16, 1, v16
	v_or_b32_e32 v16, v17, v16
	v_cvt_f32_i32_e32 v16, v16
	v_sub_u32_e32 v7, 32, v7
	v_ldexp_f32 v7, v16, v7
	v_div_scale_f32 v16, s[4:5], v7, v7, 1.0
	v_rcp_f32_e32 v17, v16
	v_div_scale_f32 v18, vcc, 1.0, v7, 1.0
	v_fma_f32 v19, -v16, v17, 1.0
	v_fmac_f32_e32 v17, v19, v17
	v_mul_f32_e32 v19, v18, v17
	v_fma_f32 v20, -v16, v19, v18
	v_fmac_f32_e32 v19, v20, v17
	v_fma_f32 v16, -v16, v19, v18
	v_div_fmas_f32 v16, v16, v17, v19
	v_div_fixup_f32 v7, v16, v7, 1.0
.LBB110_10:                             ;   in Loop: Header=BB110_11 Depth=1
	s_waitcnt vmcnt(0)
	v_mul_lo_u32 v16, v15, s12
	v_mul_lo_u32 v17, v14, s13
	v_mad_u64_u32 v[14:15], s[4:5], v14, s12, 0
	v_add3_u32 v15, v15, v17, v16
	v_lshl_add_u64 v[14:15], v[14:15], 1, v[8:9]
	global_load_ushort v14, v[14:15], off
	v_add_u32_e32 v2, 1, v2
	v_cmp_ge_i32_e32 vcc, v2, v6
	v_lshl_add_u64 v[10:11], v[10:11], 0, 8
	s_or_b64 s[6:7], vcc, s[6:7]
	v_lshl_add_u64 v[12:13], v[12:13], 0, 8
	s_waitcnt vmcnt(0)
	v_fma_mix_f32 v3, v7, v14, v3 op_sel_hi:[0,1,0]
	s_andn2_b64 exec, exec, s[6:7]
	s_cbranch_execz .LBB110_13
.LBB110_11:                             ; =>This Inner Loop Header: Depth=1
	global_load_dwordx2 v[14:15], v[10:11], off
	s_and_b64 vcc, exec, s[0:1]
	s_cbranch_vccz .LBB110_9
; %bb.12:                               ;   in Loop: Header=BB110_11 Depth=1
	v_mov_b32_e32 v7, 1.0
	s_branch .LBB110_10
.LBB110_13:
	s_or_b64 exec, exec, s[6:7]
.LBB110_14:
	s_or_b64 exec, exec, s[2:3]
	v_mul_lo_u32 v2, v5, s12
	v_mul_lo_u32 v8, v4, s13
	v_mad_u64_u32 v[4:5], s[0:1], v4, s12, 0
	v_mov_b32_e32 v6, s18
	v_mov_b32_e32 v7, s19
	v_add3_u32 v5, v5, v8, v2
	v_lshl_add_u64 v[4:5], v[4:5], 2, v[6:7]
	v_lshl_add_u64 v[0:1], v[0:1], 2, v[4:5]
	global_store_dword v[0:1], v3, off
.LBB110_15:
	s_endpgm
	.section	.rodata,"a",@progbits
	.p2align	6, 0x0
	.amdhsa_kernel _ZN2at6native12_GLOBAL__N_119compute_grad_weightIN3c104HalfElEEvPKT0_PKT_S7_llS7_PKlPNS_14AccumulateTypeIS8_Lb1EE4typeEl
		.amdhsa_group_segment_fixed_size 0
		.amdhsa_private_segment_fixed_size 0
		.amdhsa_kernarg_size 328
		.amdhsa_user_sgpr_count 2
		.amdhsa_user_sgpr_dispatch_ptr 0
		.amdhsa_user_sgpr_queue_ptr 0
		.amdhsa_user_sgpr_kernarg_segment_ptr 1
		.amdhsa_user_sgpr_dispatch_id 0
		.amdhsa_user_sgpr_kernarg_preload_length 0
		.amdhsa_user_sgpr_kernarg_preload_offset 0
		.amdhsa_user_sgpr_private_segment_size 0
		.amdhsa_uses_dynamic_stack 0
		.amdhsa_enable_private_segment 0
		.amdhsa_system_sgpr_workgroup_id_x 1
		.amdhsa_system_sgpr_workgroup_id_y 0
		.amdhsa_system_sgpr_workgroup_id_z 0
		.amdhsa_system_sgpr_workgroup_info 0
		.amdhsa_system_vgpr_workitem_id 0
		.amdhsa_next_free_vgpr 21
		.amdhsa_next_free_sgpr 26
		.amdhsa_accum_offset 24
		.amdhsa_reserve_vcc 1
		.amdhsa_float_round_mode_32 0
		.amdhsa_float_round_mode_16_64 0
		.amdhsa_float_denorm_mode_32 3
		.amdhsa_float_denorm_mode_16_64 3
		.amdhsa_dx10_clamp 1
		.amdhsa_ieee_mode 1
		.amdhsa_fp16_overflow 0
		.amdhsa_tg_split 0
		.amdhsa_exception_fp_ieee_invalid_op 0
		.amdhsa_exception_fp_denorm_src 0
		.amdhsa_exception_fp_ieee_div_zero 0
		.amdhsa_exception_fp_ieee_overflow 0
		.amdhsa_exception_fp_ieee_underflow 0
		.amdhsa_exception_fp_ieee_inexact 0
		.amdhsa_exception_int_div_zero 0
	.end_amdhsa_kernel
	.section	.text._ZN2at6native12_GLOBAL__N_119compute_grad_weightIN3c104HalfElEEvPKT0_PKT_S7_llS7_PKlPNS_14AccumulateTypeIS8_Lb1EE4typeEl,"axG",@progbits,_ZN2at6native12_GLOBAL__N_119compute_grad_weightIN3c104HalfElEEvPKT0_PKT_S7_llS7_PKlPNS_14AccumulateTypeIS8_Lb1EE4typeEl,comdat
.Lfunc_end110:
	.size	_ZN2at6native12_GLOBAL__N_119compute_grad_weightIN3c104HalfElEEvPKT0_PKT_S7_llS7_PKlPNS_14AccumulateTypeIS8_Lb1EE4typeEl, .Lfunc_end110-_ZN2at6native12_GLOBAL__N_119compute_grad_weightIN3c104HalfElEEvPKT0_PKT_S7_llS7_PKlPNS_14AccumulateTypeIS8_Lb1EE4typeEl
                                        ; -- End function
	.section	.AMDGPU.csdata,"",@progbits
; Kernel info:
; codeLenInByte = 1512
; NumSgprs: 32
; NumVgprs: 21
; NumAgprs: 0
; TotalNumVgprs: 21
; ScratchSize: 0
; MemoryBound: 0
; FloatMode: 240
; IeeeMode: 1
; LDSByteSize: 0 bytes/workgroup (compile time only)
; SGPRBlocks: 3
; VGPRBlocks: 2
; NumSGPRsForWavesPerEU: 32
; NumVGPRsForWavesPerEU: 21
; AccumOffset: 24
; Occupancy: 8
; WaveLimiterHint : 1
; COMPUTE_PGM_RSRC2:SCRATCH_EN: 0
; COMPUTE_PGM_RSRC2:USER_SGPR: 2
; COMPUTE_PGM_RSRC2:TRAP_HANDLER: 0
; COMPUTE_PGM_RSRC2:TGID_X_EN: 1
; COMPUTE_PGM_RSRC2:TGID_Y_EN: 0
; COMPUTE_PGM_RSRC2:TGID_Z_EN: 0
; COMPUTE_PGM_RSRC2:TIDIG_COMP_CNT: 0
; COMPUTE_PGM_RSRC3_GFX90A:ACCUM_OFFSET: 5
; COMPUTE_PGM_RSRC3_GFX90A:TG_SPLIT: 0
	.section	.text._ZN2at6native12_GLOBAL__N_115sum_and_scatterIN3c104HalfElEEvPKT0_PT_lS7_PKlPKNS_14AccumulateTypeIS8_Lb1EE4typeES7_SB_ll,"axG",@progbits,_ZN2at6native12_GLOBAL__N_115sum_and_scatterIN3c104HalfElEEvPKT0_PT_lS7_PKlPKNS_14AccumulateTypeIS8_Lb1EE4typeES7_SB_ll,comdat
	.globl	_ZN2at6native12_GLOBAL__N_115sum_and_scatterIN3c104HalfElEEvPKT0_PT_lS7_PKlPKNS_14AccumulateTypeIS8_Lb1EE4typeES7_SB_ll ; -- Begin function _ZN2at6native12_GLOBAL__N_115sum_and_scatterIN3c104HalfElEEvPKT0_PT_lS7_PKlPKNS_14AccumulateTypeIS8_Lb1EE4typeES7_SB_ll
	.p2align	8
	.type	_ZN2at6native12_GLOBAL__N_115sum_and_scatterIN3c104HalfElEEvPKT0_PT_lS7_PKlPKNS_14AccumulateTypeIS8_Lb1EE4typeES7_SB_ll,@function
_ZN2at6native12_GLOBAL__N_115sum_and_scatterIN3c104HalfElEEvPKT0_PT_lS7_PKlPKNS_14AccumulateTypeIS8_Lb1EE4typeES7_SB_ll: ; @_ZN2at6native12_GLOBAL__N_115sum_and_scatterIN3c104HalfElEEvPKT0_PT_lS7_PKlPKNS_14AccumulateTypeIS8_Lb1EE4typeES7_SB_ll
; %bb.0:
	s_load_dword s3, s[0:1], 0x5c
	s_load_dwordx4 s[20:23], s[0:1], 0x40
	s_load_dwordx16 s[4:19], s[0:1], 0x0
	v_mov_b32_e32 v1, 0
	v_mov_b32_e32 v2, s2
	s_waitcnt lgkmcnt(0)
	s_and_b32 s0, s3, 0xffff
	v_mad_u64_u32 v[2:3], s[0:1], s0, v2, v[0:1]
	v_or_b32_e32 v5, s23, v3
	v_mov_b32_e32 v4, v1
	v_cmp_ne_u64_e32 vcc, 0, v[4:5]
                                        ; implicit-def: $vgpr4_vgpr5
	s_and_saveexec_b64 s[0:1], vcc
	s_xor_b64 s[2:3], exec, s[0:1]
	s_cbranch_execz .LBB111_2
; %bb.1:
	s_ashr_i32 s24, s23, 31
	s_add_u32 s0, s22, s24
	s_mov_b32 s25, s24
	s_addc_u32 s1, s23, s24
	s_xor_b64 s[26:27], s[0:1], s[24:25]
	v_cvt_f32_u32_e32 v0, s26
	v_cvt_f32_u32_e32 v4, s27
	s_sub_u32 s0, 0, s26
	s_subb_u32 s1, 0, s27
	v_fmamk_f32 v0, v4, 0x4f800000, v0
	v_rcp_f32_e32 v0, v0
	s_nop 0
	v_mul_f32_e32 v0, 0x5f7ffffc, v0
	v_mul_f32_e32 v4, 0x2f800000, v0
	v_trunc_f32_e32 v4, v4
	v_fmamk_f32 v0, v4, 0xcf800000, v0
	v_cvt_u32_f32_e32 v6, v4
	v_cvt_u32_f32_e32 v7, v0
	v_mul_lo_u32 v0, s0, v6
	v_mul_hi_u32 v5, s0, v7
	v_mul_lo_u32 v4, s1, v7
	v_add_u32_e32 v0, v5, v0
	v_mul_lo_u32 v8, s0, v7
	v_add_u32_e32 v9, v0, v4
	v_mul_hi_u32 v5, v7, v9
	v_mul_lo_u32 v4, v7, v9
	v_mul_hi_u32 v0, v7, v8
	v_lshl_add_u64 v[4:5], v[0:1], 0, v[4:5]
	v_mul_hi_u32 v0, v6, v8
	v_mul_lo_u32 v8, v6, v8
	v_add_co_u32_e32 v4, vcc, v4, v8
	v_mul_hi_u32 v10, v6, v9
	s_nop 0
	v_addc_co_u32_e32 v0, vcc, v5, v0, vcc
	v_mul_lo_u32 v4, v6, v9
	s_nop 0
	v_addc_co_u32_e32 v5, vcc, 0, v10, vcc
	v_lshl_add_u64 v[4:5], v[0:1], 0, v[4:5]
	v_add_co_u32_e32 v7, vcc, v7, v4
	v_mul_hi_u32 v4, s0, v7
	s_nop 0
	v_addc_co_u32_e32 v6, vcc, v6, v5, vcc
	v_mul_lo_u32 v0, s0, v6
	v_add_u32_e32 v0, v4, v0
	v_mul_lo_u32 v4, s1, v7
	v_add_u32_e32 v8, v0, v4
	v_mul_lo_u32 v0, s0, v7
	v_mul_hi_u32 v10, v6, v0
	v_mul_lo_u32 v11, v6, v0
	v_mul_hi_u32 v5, v7, v8
	;; [unrolled: 2-line block ×3, first 2 shown]
	v_lshl_add_u64 v[4:5], v[0:1], 0, v[4:5]
	v_add_co_u32_e32 v0, vcc, v4, v11
	v_mul_hi_u32 v9, v6, v8
	s_nop 0
	v_addc_co_u32_e32 v0, vcc, v5, v10, vcc
	v_mul_lo_u32 v4, v6, v8
	s_nop 0
	v_addc_co_u32_e32 v5, vcc, 0, v9, vcc
	v_lshl_add_u64 v[4:5], v[0:1], 0, v[4:5]
	v_add_co_u32_e32 v10, vcc, v7, v4
	v_ashrrev_i32_e32 v4, 31, v3
	s_nop 0
	v_addc_co_u32_e32 v8, vcc, v6, v5, vcc
	v_mov_b32_e32 v5, v4
	v_lshl_add_u64 v[6:7], v[2:3], 0, v[4:5]
	v_xor_b32_e32 v12, v6, v4
	v_xor_b32_e32 v5, v7, v4
	v_mad_u64_u32 v[6:7], s[0:1], v12, v8, 0
	v_mul_hi_u32 v0, v12, v10
	v_lshl_add_u64 v[6:7], v[0:1], 0, v[6:7]
	v_mad_u64_u32 v[10:11], s[0:1], v5, v10, 0
	v_add_co_u32_e32 v0, vcc, v6, v10
	v_mad_u64_u32 v[8:9], s[0:1], v5, v8, 0
	s_nop 0
	v_addc_co_u32_e32 v0, vcc, v7, v11, vcc
	s_nop 1
	v_addc_co_u32_e32 v9, vcc, 0, v9, vcc
	v_lshl_add_u64 v[0:1], v[0:1], 0, v[8:9]
	v_mul_lo_u32 v8, s27, v0
	v_mul_lo_u32 v9, s26, v1
	v_mad_u64_u32 v[6:7], s[0:1], s26, v0, 0
	v_add3_u32 v10, v7, v9, v8
	v_sub_u32_e32 v7, v5, v10
	v_mov_b32_e32 v8, s27
	v_sub_co_u32_e32 v11, vcc, v12, v6
	s_nop 1
	v_subb_co_u32_e64 v6, s[0:1], v7, v8, vcc
	v_subrev_co_u32_e64 v7, s[0:1], s26, v11
	v_subb_co_u32_e32 v5, vcc, v5, v10, vcc
	s_nop 0
	v_subbrev_co_u32_e64 v6, s[0:1], 0, v6, s[0:1]
	v_cmp_le_u32_e64 s[0:1], s27, v6
	v_cmp_le_u32_e32 vcc, s27, v5
	s_nop 0
	v_cndmask_b32_e64 v8, 0, -1, s[0:1]
	v_cmp_le_u32_e64 s[0:1], s26, v7
	s_nop 1
	v_cndmask_b32_e64 v7, 0, -1, s[0:1]
	v_cmp_eq_u32_e64 s[0:1], s27, v6
	s_nop 1
	v_cndmask_b32_e64 v12, v8, v7, s[0:1]
	v_lshl_add_u64 v[6:7], v[0:1], 0, 2
	v_lshl_add_u64 v[8:9], v[0:1], 0, 1
	v_cmp_ne_u32_e64 s[0:1], 0, v12
	s_nop 1
	v_cndmask_b32_e64 v7, v9, v7, s[0:1]
	v_cndmask_b32_e64 v9, 0, -1, vcc
	v_cmp_le_u32_e32 vcc, s26, v11
	s_nop 1
	v_cndmask_b32_e64 v10, 0, -1, vcc
	v_cmp_eq_u32_e32 vcc, s27, v5
	s_nop 1
	v_cndmask_b32_e32 v5, v9, v10, vcc
	v_cmp_ne_u32_e32 vcc, 0, v5
	v_cndmask_b32_e64 v5, v8, v6, s[0:1]
	s_nop 0
	v_cndmask_b32_e32 v0, v0, v5, vcc
	v_xor_b32_e32 v5, s24, v4
	v_cndmask_b32_e32 v1, v1, v7, vcc
	v_xor_b32_e32 v0, v0, v5
	v_xor_b32_e32 v1, v1, v5
	v_sub_co_u32_e32 v4, vcc, v0, v5
	s_nop 1
	v_subb_co_u32_e32 v5, vcc, v1, v5, vcc
.LBB111_2:
	s_or_saveexec_b64 s[0:1], s[2:3]
	s_load_dwordx2 s[2:3], s[12:13], 0x0
	s_xor_b64 exec, exec, s[0:1]
	s_cbranch_execz .LBB111_4
; %bb.3:
	v_cvt_f32_u32_e32 v0, s22
	s_sub_i32 s12, 0, s22
	v_rcp_iflag_f32_e32 v0, v0
	s_nop 0
	v_mul_f32_e32 v0, 0x4f7ffffe, v0
	v_cvt_u32_f32_e32 v0, v0
	v_mul_lo_u32 v1, s12, v0
	v_mul_hi_u32 v1, v0, v1
	v_add_u32_e32 v0, v0, v1
	v_mul_hi_u32 v0, v2, v0
	v_mul_lo_u32 v1, v0, s22
	v_sub_u32_e32 v1, v2, v1
	v_add_u32_e32 v4, 1, v0
	v_subrev_u32_e32 v5, s22, v1
	v_cmp_le_u32_e32 vcc, s22, v1
	s_nop 1
	v_cndmask_b32_e32 v1, v1, v5, vcc
	v_cndmask_b32_e32 v0, v0, v4, vcc
	v_add_u32_e32 v4, 1, v0
	v_cmp_le_u32_e32 vcc, s22, v1
	v_mov_b32_e32 v5, 0
	s_nop 0
	v_cndmask_b32_e32 v4, v0, v4, vcc
.LBB111_4:
	s_or_b64 exec, exec, s[0:1]
	v_mul_lo_u32 v0, v5, s22
	v_mul_lo_u32 v1, v4, s23
	v_mad_u64_u32 v[6:7], s[0:1], v4, s22, 0
	v_add3_u32 v7, v7, v1, v0
	v_sub_co_u32_e32 v0, vcc, v2, v6
	s_waitcnt lgkmcnt(0)
	v_cmp_gt_i64_e64 s[0:1], s[2:3], v[4:5]
	v_subb_co_u32_e32 v1, vcc, v3, v7, vcc
	v_cmp_gt_i64_e32 vcc, s[8:9], v[0:1]
	s_and_b64 s[0:1], vcc, s[0:1]
	s_and_saveexec_b64 s[12:13], s[0:1]
	s_cbranch_execz .LBB111_11
; %bb.5:
	v_mov_b32_e32 v8, s16
	v_mov_b32_e32 v9, s17
	s_add_u32 s0, s2, -1
	v_lshl_add_u64 v[10:11], v[4:5], 3, v[8:9]
	s_addc_u32 s1, s3, -1
	global_load_dword v8, v[10:11], off
	v_lshl_add_u64 v[10:11], v[10:11], 0, 8
	v_mov_b32_e32 v9, s19
	v_cmp_eq_u64_e32 vcc, s[0:1], v[4:5]
	s_nop 1
	v_cndmask_b32_e32 v11, v11, v9, vcc
	v_mov_b32_e32 v9, s18
	v_cndmask_b32_e32 v10, v10, v9, vcc
	global_load_dword v9, v[10:11], off
	v_mov_b32_e32 v10, 0
	s_waitcnt vmcnt(0)
	v_cmp_lt_i32_e32 vcc, v8, v9
	s_and_saveexec_b64 s[0:1], vcc
	s_cbranch_execz .LBB111_9
; %bb.6:
	v_ashrrev_i32_e32 v10, 31, v8
	v_mul_lo_u32 v12, s9, v8
	v_mul_lo_u32 v13, s8, v10
	v_mad_u64_u32 v[10:11], s[2:3], s8, v8, 0
	v_add3_u32 v11, v11, v13, v12
	v_lshlrev_b64 v[2:3], 2, v[2:3]
	v_lshl_add_u64 v[2:3], v[10:11], 2, v[2:3]
	v_lshlrev_b64 v[6:7], 2, v[6:7]
	v_sub_co_u32_e32 v2, vcc, v2, v6
	s_lshl_b64 s[12:13], s[8:9], 2
	s_nop 0
	v_subb_co_u32_e32 v3, vcc, v3, v7, vcc
	v_lshl_add_u64 v[2:3], s[14:15], 0, v[2:3]
	s_mov_b64 s[2:3], 0
	v_mov_b32_e32 v6, 0
.LBB111_7:                              ; =>This Inner Loop Header: Depth=1
	global_load_dword v7, v[2:3], off
	v_add_u32_e32 v8, 1, v8
	v_cmp_ge_i32_e32 vcc, v8, v9
	v_lshl_add_u64 v[2:3], v[2:3], 0, s[12:13]
	s_or_b64 s[2:3], vcc, s[2:3]
	s_waitcnt vmcnt(0)
	v_add_f32_e32 v6, v6, v7
	s_andn2_b64 exec, exec, s[2:3]
	s_cbranch_execnz .LBB111_7
; %bb.8:
	s_or_b64 exec, exec, s[2:3]
	v_cvt_f16_f32_e32 v10, v6
.LBB111_9:
	s_or_b64 exec, exec, s[0:1]
	v_mov_b32_e32 v2, s10
	v_mov_b32_e32 v3, s11
	v_lshl_add_u64 v[2:3], v[4:5], 3, v[2:3]
	global_load_dwordx2 v[2:3], v[2:3], off
	v_mov_b32_e32 v4, s4
	v_mov_b32_e32 v5, s5
	s_waitcnt vmcnt(0)
	v_lshl_add_u64 v[2:3], v[2:3], 3, v[4:5]
	global_load_dwordx2 v[2:3], v[2:3], off
	s_waitcnt vmcnt(0)
	v_cmp_ne_u64_e32 vcc, s[20:21], v[2:3]
	s_and_b64 exec, exec, vcc
	s_cbranch_execz .LBB111_11
; %bb.10:
	v_mul_lo_u32 v6, v3, s8
	v_mul_lo_u32 v7, v2, s9
	v_mad_u64_u32 v[2:3], s[0:1], v2, s8, 0
	v_mov_b32_e32 v4, s6
	v_mov_b32_e32 v5, s7
	v_add3_u32 v3, v3, v7, v6
	v_lshl_add_u64 v[2:3], v[2:3], 1, v[4:5]
	v_lshl_add_u64 v[0:1], v[0:1], 1, v[2:3]
	global_store_short v[0:1], v10, off
.LBB111_11:
	s_endpgm
	.section	.rodata,"a",@progbits
	.p2align	6, 0x0
	.amdhsa_kernel _ZN2at6native12_GLOBAL__N_115sum_and_scatterIN3c104HalfElEEvPKT0_PT_lS7_PKlPKNS_14AccumulateTypeIS8_Lb1EE4typeES7_SB_ll
		.amdhsa_group_segment_fixed_size 0
		.amdhsa_private_segment_fixed_size 0
		.amdhsa_kernarg_size 336
		.amdhsa_user_sgpr_count 2
		.amdhsa_user_sgpr_dispatch_ptr 0
		.amdhsa_user_sgpr_queue_ptr 0
		.amdhsa_user_sgpr_kernarg_segment_ptr 1
		.amdhsa_user_sgpr_dispatch_id 0
		.amdhsa_user_sgpr_kernarg_preload_length 0
		.amdhsa_user_sgpr_kernarg_preload_offset 0
		.amdhsa_user_sgpr_private_segment_size 0
		.amdhsa_uses_dynamic_stack 0
		.amdhsa_enable_private_segment 0
		.amdhsa_system_sgpr_workgroup_id_x 1
		.amdhsa_system_sgpr_workgroup_id_y 0
		.amdhsa_system_sgpr_workgroup_id_z 0
		.amdhsa_system_sgpr_workgroup_info 0
		.amdhsa_system_vgpr_workitem_id 0
		.amdhsa_next_free_vgpr 14
		.amdhsa_next_free_sgpr 28
		.amdhsa_accum_offset 16
		.amdhsa_reserve_vcc 1
		.amdhsa_float_round_mode_32 0
		.amdhsa_float_round_mode_16_64 0
		.amdhsa_float_denorm_mode_32 3
		.amdhsa_float_denorm_mode_16_64 3
		.amdhsa_dx10_clamp 1
		.amdhsa_ieee_mode 1
		.amdhsa_fp16_overflow 0
		.amdhsa_tg_split 0
		.amdhsa_exception_fp_ieee_invalid_op 0
		.amdhsa_exception_fp_denorm_src 0
		.amdhsa_exception_fp_ieee_div_zero 0
		.amdhsa_exception_fp_ieee_overflow 0
		.amdhsa_exception_fp_ieee_underflow 0
		.amdhsa_exception_fp_ieee_inexact 0
		.amdhsa_exception_int_div_zero 0
	.end_amdhsa_kernel
	.section	.text._ZN2at6native12_GLOBAL__N_115sum_and_scatterIN3c104HalfElEEvPKT0_PT_lS7_PKlPKNS_14AccumulateTypeIS8_Lb1EE4typeES7_SB_ll,"axG",@progbits,_ZN2at6native12_GLOBAL__N_115sum_and_scatterIN3c104HalfElEEvPKT0_PT_lS7_PKlPKNS_14AccumulateTypeIS8_Lb1EE4typeES7_SB_ll,comdat
.Lfunc_end111:
	.size	_ZN2at6native12_GLOBAL__N_115sum_and_scatterIN3c104HalfElEEvPKT0_PT_lS7_PKlPKNS_14AccumulateTypeIS8_Lb1EE4typeES7_SB_ll, .Lfunc_end111-_ZN2at6native12_GLOBAL__N_115sum_and_scatterIN3c104HalfElEEvPKT0_PT_lS7_PKlPKNS_14AccumulateTypeIS8_Lb1EE4typeES7_SB_ll
                                        ; -- End function
	.section	.AMDGPU.csdata,"",@progbits
; Kernel info:
; codeLenInByte = 1388
; NumSgprs: 34
; NumVgprs: 14
; NumAgprs: 0
; TotalNumVgprs: 14
; ScratchSize: 0
; MemoryBound: 0
; FloatMode: 240
; IeeeMode: 1
; LDSByteSize: 0 bytes/workgroup (compile time only)
; SGPRBlocks: 4
; VGPRBlocks: 1
; NumSGPRsForWavesPerEU: 34
; NumVGPRsForWavesPerEU: 14
; AccumOffset: 16
; Occupancy: 8
; WaveLimiterHint : 1
; COMPUTE_PGM_RSRC2:SCRATCH_EN: 0
; COMPUTE_PGM_RSRC2:USER_SGPR: 2
; COMPUTE_PGM_RSRC2:TRAP_HANDLER: 0
; COMPUTE_PGM_RSRC2:TGID_X_EN: 1
; COMPUTE_PGM_RSRC2:TGID_Y_EN: 0
; COMPUTE_PGM_RSRC2:TGID_Z_EN: 0
; COMPUTE_PGM_RSRC2:TIDIG_COMP_CNT: 0
; COMPUTE_PGM_RSRC3_GFX90A:ACCUM_OFFSET: 3
; COMPUTE_PGM_RSRC3_GFX90A:TG_SPLIT: 0
	.section	.text._ZN2at6native12_GLOBAL__N_137compute_grad_weight_atomic_accumulateIN3c108BFloat16EflEEvPKT1_PKT_S7_llS7_PKlS7_S7_S7_PT0_ll,"axG",@progbits,_ZN2at6native12_GLOBAL__N_137compute_grad_weight_atomic_accumulateIN3c108BFloat16EflEEvPKT1_PKT_S7_llS7_PKlS7_S7_S7_PT0_ll,comdat
	.globl	_ZN2at6native12_GLOBAL__N_137compute_grad_weight_atomic_accumulateIN3c108BFloat16EflEEvPKT1_PKT_S7_llS7_PKlS7_S7_S7_PT0_ll ; -- Begin function _ZN2at6native12_GLOBAL__N_137compute_grad_weight_atomic_accumulateIN3c108BFloat16EflEEvPKT1_PKT_S7_llS7_PKlS7_S7_S7_PT0_ll
	.p2align	8
	.type	_ZN2at6native12_GLOBAL__N_137compute_grad_weight_atomic_accumulateIN3c108BFloat16EflEEvPKT1_PKT_S7_llS7_PKlS7_S7_S7_PT0_ll,@function
_ZN2at6native12_GLOBAL__N_137compute_grad_weight_atomic_accumulateIN3c108BFloat16EflEEvPKT1_PKT_S7_llS7_PKlS7_S7_S7_PT0_ll: ; @_ZN2at6native12_GLOBAL__N_137compute_grad_weight_atomic_accumulateIN3c108BFloat16EflEEvPKT1_PKT_S7_llS7_PKlS7_S7_S7_PT0_ll
; %bb.0:
	s_load_dword s3, s[0:1], 0x74
	s_load_dwordx2 s[20:21], s[0:1], 0x60
	v_mov_b32_e32 v4, 0
	s_waitcnt lgkmcnt(0)
	s_and_b32 s3, s3, 0xffff
	s_mul_i32 s2, s2, s3
	v_add_u32_e32 v2, s2, v0
	v_ashrrev_i32_e32 v3, 31, v2
	v_or_b32_e32 v5, s21, v3
	v_cmp_ne_u64_e32 vcc, 0, v[4:5]
                                        ; implicit-def: $vgpr0_vgpr1
	s_and_saveexec_b64 s[2:3], vcc
	s_xor_b64 s[4:5], exec, s[2:3]
	s_cbranch_execz .LBB112_2
; %bb.1:
	s_ashr_i32 s6, s21, 31
	s_add_u32 s2, s20, s6
	s_mov_b32 s7, s6
	s_addc_u32 s3, s21, s6
	s_xor_b64 s[8:9], s[2:3], s[6:7]
	v_cvt_f32_u32_e32 v0, s8
	v_cvt_f32_u32_e32 v1, s9
	s_sub_u32 s2, 0, s8
	s_subb_u32 s3, 0, s9
	v_mov_b32_e32 v7, v4
	v_fmamk_f32 v0, v1, 0x4f800000, v0
	v_rcp_f32_e32 v0, v0
	s_nop 0
	v_mul_f32_e32 v0, 0x5f7ffffc, v0
	v_mul_f32_e32 v1, 0x2f800000, v0
	v_trunc_f32_e32 v1, v1
	v_fmamk_f32 v0, v1, 0xcf800000, v0
	v_cvt_u32_f32_e32 v5, v1
	v_cvt_u32_f32_e32 v8, v0
	v_mul_lo_u32 v0, s2, v5
	v_mul_hi_u32 v6, s2, v8
	v_mul_lo_u32 v1, s3, v8
	v_add_u32_e32 v0, v6, v0
	v_mul_lo_u32 v9, s2, v8
	v_add_u32_e32 v10, v0, v1
	v_mul_hi_u32 v1, v8, v10
	v_mul_lo_u32 v0, v8, v10
	v_mul_hi_u32 v6, v8, v9
	v_lshl_add_u64 v[0:1], v[6:7], 0, v[0:1]
	v_mul_hi_u32 v7, v5, v9
	v_mul_lo_u32 v9, v5, v9
	v_add_co_u32_e32 v0, vcc, v0, v9
	v_mul_hi_u32 v6, v5, v10
	s_nop 0
	v_addc_co_u32_e32 v0, vcc, v1, v7, vcc
	v_mov_b32_e32 v1, v4
	s_nop 0
	v_addc_co_u32_e32 v7, vcc, 0, v6, vcc
	v_mul_lo_u32 v6, v5, v10
	v_lshl_add_u64 v[0:1], v[0:1], 0, v[6:7]
	v_add_co_u32_e32 v8, vcc, v8, v0
	v_mul_lo_u32 v6, s2, v8
	s_nop 0
	v_addc_co_u32_e32 v5, vcc, v5, v1, vcc
	v_mul_lo_u32 v0, s2, v5
	v_mul_hi_u32 v1, s2, v8
	v_add_u32_e32 v0, v1, v0
	v_mul_lo_u32 v1, s3, v8
	v_add_u32_e32 v9, v0, v1
	v_mul_hi_u32 v11, v5, v6
	v_mul_lo_u32 v12, v5, v6
	v_mul_hi_u32 v1, v8, v9
	v_mul_lo_u32 v0, v8, v9
	v_mul_hi_u32 v6, v8, v6
	v_mov_b32_e32 v7, v4
	v_lshl_add_u64 v[0:1], v[6:7], 0, v[0:1]
	v_add_co_u32_e32 v0, vcc, v0, v12
	v_mul_hi_u32 v10, v5, v9
	s_nop 0
	v_addc_co_u32_e32 v0, vcc, v1, v11, vcc
	v_mul_lo_u32 v6, v5, v9
	s_nop 0
	v_addc_co_u32_e32 v7, vcc, 0, v10, vcc
	v_mov_b32_e32 v1, v4
	v_lshl_add_u64 v[0:1], v[0:1], 0, v[6:7]
	v_add_co_u32_e32 v10, vcc, v8, v0
	v_mov_b32_e32 v0, v3
	s_nop 0
	v_addc_co_u32_e32 v5, vcc, v5, v1, vcc
	v_mov_b32_e32 v1, v3
	v_lshl_add_u64 v[6:7], v[2:3], 0, v[0:1]
	v_xor_b32_e32 v13, v6, v0
	v_xor_b32_e32 v12, v7, v1
	v_mad_u64_u32 v[6:7], s[2:3], v13, v5, 0
	v_mul_hi_u32 v8, v13, v10
	v_mov_b32_e32 v9, v4
	v_lshl_add_u64 v[6:7], v[8:9], 0, v[6:7]
	v_mad_u64_u32 v[10:11], s[2:3], v12, v10, 0
	v_mad_u64_u32 v[8:9], s[2:3], v12, v5, 0
	v_add_co_u32_e32 v5, vcc, v6, v10
	v_xor_b32_e32 v0, s6, v0
	s_nop 0
	v_addc_co_u32_e32 v6, vcc, v7, v11, vcc
	v_mov_b32_e32 v7, v4
	s_nop 0
	v_addc_co_u32_e32 v9, vcc, 0, v9, vcc
	v_lshl_add_u64 v[4:5], v[6:7], 0, v[8:9]
	v_mul_lo_u32 v8, s9, v4
	v_mul_lo_u32 v9, s8, v5
	v_mad_u64_u32 v[6:7], s[2:3], s8, v4, 0
	v_add3_u32 v10, v7, v9, v8
	v_sub_u32_e32 v7, v12, v10
	v_mov_b32_e32 v8, s9
	v_sub_co_u32_e32 v11, vcc, v13, v6
	v_xor_b32_e32 v1, s6, v1
	s_nop 0
	v_subb_co_u32_e64 v6, s[2:3], v7, v8, vcc
	v_subrev_co_u32_e64 v7, s[2:3], s8, v11
	s_nop 1
	v_subbrev_co_u32_e64 v6, s[2:3], 0, v6, s[2:3]
	v_cmp_le_u32_e64 s[2:3], s9, v6
	s_nop 1
	v_cndmask_b32_e64 v8, 0, -1, s[2:3]
	v_cmp_le_u32_e64 s[2:3], s8, v7
	s_nop 1
	v_cndmask_b32_e64 v7, 0, -1, s[2:3]
	v_cmp_eq_u32_e64 s[2:3], s9, v6
	s_nop 1
	v_cndmask_b32_e64 v13, v8, v7, s[2:3]
	v_lshl_add_u64 v[6:7], v[4:5], 0, 2
	v_lshl_add_u64 v[8:9], v[4:5], 0, 1
	v_cmp_ne_u32_e64 s[2:3], 0, v13
	s_nop 1
	v_cndmask_b32_e64 v7, v9, v7, s[2:3]
	v_subb_co_u32_e32 v9, vcc, v12, v10, vcc
	v_cmp_le_u32_e32 vcc, s9, v9
	v_cndmask_b32_e64 v6, v8, v6, s[2:3]
	s_nop 0
	v_cndmask_b32_e64 v10, 0, -1, vcc
	v_cmp_le_u32_e32 vcc, s8, v11
	s_nop 1
	v_cndmask_b32_e64 v11, 0, -1, vcc
	v_cmp_eq_u32_e32 vcc, s9, v9
	s_nop 1
	v_cndmask_b32_e32 v9, v10, v11, vcc
	v_cmp_ne_u32_e32 vcc, 0, v9
	s_nop 1
	v_cndmask_b32_e32 v4, v4, v6, vcc
	v_cndmask_b32_e32 v5, v5, v7, vcc
	v_xor_b32_e32 v4, v4, v0
	v_xor_b32_e32 v5, v5, v1
	v_sub_co_u32_e32 v0, vcc, v4, v0
	s_nop 1
	v_subb_co_u32_e32 v1, vcc, v5, v1, vcc
.LBB112_2:
	s_or_saveexec_b64 s[2:3], s[4:5]
	s_load_dwordx16 s[4:19], s[0:1], 0x0
	s_xor_b64 exec, exec, s[2:3]
	s_cbranch_execz .LBB112_4
; %bb.3:
	v_cvt_f32_u32_e32 v0, s20
	s_sub_i32 s22, 0, s20
	v_rcp_iflag_f32_e32 v0, v0
	s_nop 0
	v_mul_f32_e32 v0, 0x4f7ffffe, v0
	v_cvt_u32_f32_e32 v0, v0
	v_mul_lo_u32 v1, s22, v0
	v_mul_hi_u32 v1, v0, v1
	v_add_u32_e32 v0, v0, v1
	v_mul_hi_u32 v0, v2, v0
	v_mul_lo_u32 v1, v0, s20
	v_sub_u32_e32 v1, v2, v1
	v_add_u32_e32 v4, 1, v0
	v_subrev_u32_e32 v5, s20, v1
	v_cmp_le_u32_e32 vcc, s20, v1
	s_nop 1
	v_cndmask_b32_e32 v1, v1, v5, vcc
	v_cndmask_b32_e32 v0, v0, v4, vcc
	v_add_u32_e32 v4, 1, v0
	v_cmp_le_u32_e32 vcc, s20, v1
	v_mov_b32_e32 v1, 0
	s_nop 0
	v_cndmask_b32_e32 v0, v0, v4, vcc
.LBB112_4:
	s_or_b64 exec, exec, s[2:3]
	v_mul_lo_u32 v1, v1, s20
	v_mul_lo_u32 v6, v0, s21
	v_mad_u64_u32 v[4:5], s[2:3], v0, s20, 0
	v_add3_u32 v1, v5, v6, v1
	v_sub_co_u32_e32 v2, vcc, v2, v4
	s_nop 1
	v_subb_co_u32_e32 v3, vcc, v3, v1, vcc
	s_waitcnt lgkmcnt(0)
	v_cmp_gt_i64_e32 vcc, s[12:13], v[2:3]
	s_and_saveexec_b64 s[2:3], vcc
	s_cbranch_execz .LBB112_17
; %bb.5:
	s_load_dwordx2 s[2:3], s[16:17], 0x0
	v_ashrrev_i32_e32 v1, 31, v0
	s_waitcnt lgkmcnt(0)
	v_cmp_gt_i64_e32 vcc, s[2:3], v[0:1]
	s_and_b64 exec, exec, vcc
	s_cbranch_execz .LBB112_17
; %bb.6:
	v_lshl_add_u64 v[4:5], v[0:1], 3, s[14:15]
	global_load_dwordx2 v[4:5], v[4:5], off
	s_load_dwordx8 s[20:27], s[0:1], 0x40
	s_add_u32 s0, s2, -1
	s_addc_u32 s1, s3, -1
	v_cmp_ne_u64_e32 vcc, s[0:1], v[0:1]
	v_mov_b64_e32 v[6:7], s[10:11]
	s_and_saveexec_b64 s[0:1], vcc
	s_cbranch_execz .LBB112_8
; %bb.7:
	s_mov_b32 s2, 0
	v_mov_b32_e32 v6, 0
	v_mov_b32_e32 v7, v0
	s_mov_b32 s3, 1
	v_lshl_add_u64 v[6:7], v[6:7], 0, s[2:3]
	v_ashrrev_i64 v[6:7], 29, v[6:7]
	v_lshl_add_u64 v[6:7], s[14:15], 0, v[6:7]
	global_load_dwordx2 v[6:7], v[6:7], off
.LBB112_8:
	s_or_b64 exec, exec, s[0:1]
	s_waitcnt vmcnt(0)
	v_cmp_lt_i64_e32 vcc, v[4:5], v[6:7]
	v_mov_b32_e32 v16, 0
	s_and_saveexec_b64 s[2:3], vcc
	s_cbranch_execz .LBB112_15
; %bb.9:
	s_cmp_lg_u64 s[8:9], 0
	s_cselect_b64 s[0:1], -1, 0
	v_mov_b32_e32 v8, s6
	v_mov_b32_e32 v9, s7
	v_lshlrev_b64 v[12:13], 3, v[4:5]
	v_cndmask_b32_e64 v14, 0, 1, s[0:1]
	v_lshl_add_u64 v[8:9], v[2:3], 1, v[8:9]
	s_mov_b64 s[6:7], 0
	v_lshl_add_u64 v[10:11], s[8:9], 0, v[12:13]
	v_lshl_add_u64 v[12:13], s[4:5], 0, v[12:13]
	v_mov_b32_e32 v16, 0
	v_cmp_ne_u32_e64 s[0:1], 1, v14
	s_branch .LBB112_12
.LBB112_10:                             ;   in Loop: Header=BB112_12 Depth=1
	global_load_dwordx2 v[18:19], v[10:11], off
	s_waitcnt vmcnt(0)
	v_xor_b32_e32 v20, v18, v19
	v_ffbh_i32_e32 v17, v19
	v_ashrrev_i32_e32 v20, 31, v20
	v_add_u32_e32 v17, -1, v17
	v_add_u32_e32 v20, 32, v20
	v_min_u32_e32 v17, v17, v20
	v_lshlrev_b64 v[18:19], v17, v[18:19]
	v_min_u32_e32 v18, 1, v18
	v_or_b32_e32 v18, v19, v18
	v_cvt_f32_i32_e32 v18, v18
	v_sub_u32_e32 v17, 32, v17
	v_ldexp_f32 v17, v18, v17
	v_div_scale_f32 v18, s[4:5], v17, v17, 1.0
	v_rcp_f32_e32 v19, v18
	v_div_scale_f32 v20, vcc, 1.0, v17, 1.0
	v_fma_f32 v21, -v18, v19, 1.0
	v_fmac_f32_e32 v19, v21, v19
	v_mul_f32_e32 v21, v20, v19
	v_fma_f32 v22, -v18, v21, v20
	v_fmac_f32_e32 v21, v22, v19
	v_fma_f32 v18, -v18, v21, v20
	v_div_fmas_f32 v18, v18, v19, v21
	v_div_fixup_f32 v17, v18, v17, 1.0
.LBB112_11:                             ;   in Loop: Header=BB112_12 Depth=1
	s_waitcnt vmcnt(0)
	v_mul_lo_u32 v18, v15, s12
	v_mul_lo_u32 v19, v14, s13
	v_mad_u64_u32 v[14:15], s[4:5], v14, s12, 0
	v_add3_u32 v15, v15, v19, v18
	v_lshl_add_u64 v[14:15], v[14:15], 1, v[8:9]
	global_load_ushort v14, v[14:15], off
	v_lshl_add_u64 v[4:5], v[4:5], 0, 1
	v_cmp_ge_i64_e32 vcc, v[4:5], v[6:7]
	v_lshl_add_u64 v[10:11], v[10:11], 0, 8
	s_or_b64 s[6:7], vcc, s[6:7]
	v_lshl_add_u64 v[12:13], v[12:13], 0, 8
	s_waitcnt vmcnt(0)
	v_lshlrev_b32_e32 v14, 16, v14
	v_fmac_f32_e32 v16, v17, v14
	s_andn2_b64 exec, exec, s[6:7]
	s_cbranch_execz .LBB112_14
.LBB112_12:                             ; =>This Inner Loop Header: Depth=1
	global_load_dwordx2 v[14:15], v[12:13], off
	s_and_b64 vcc, exec, s[0:1]
	s_cbranch_vccz .LBB112_10
; %bb.13:                               ;   in Loop: Header=BB112_12 Depth=1
	v_mov_b32_e32 v17, 1.0
	s_branch .LBB112_11
.LBB112_14:
	s_or_b64 exec, exec, s[6:7]
.LBB112_15:
	s_or_b64 exec, exec, s[2:3]
	s_waitcnt lgkmcnt(0)
	v_mov_b32_e32 v4, s20
	v_mov_b32_e32 v5, s21
	v_lshl_add_u64 v[0:1], v[0:1], 3, v[4:5]
	global_load_dwordx2 v[0:1], v[0:1], off
	v_mov_b32_e32 v4, s22
	v_mov_b32_e32 v5, s23
	s_waitcnt vmcnt(0)
	v_lshl_add_u64 v[0:1], v[0:1], 3, v[4:5]
	global_load_dwordx2 v[0:1], v[0:1], off
	v_mov_b32_e32 v4, s18
	v_mov_b32_e32 v5, s19
	s_waitcnt vmcnt(0)
	v_lshl_add_u64 v[0:1], v[0:1], 3, v[4:5]
	global_load_dwordx2 v[0:1], v[0:1], off
	s_waitcnt vmcnt(0)
	v_cmp_ne_u64_e32 vcc, s[26:27], v[0:1]
	s_and_b64 exec, exec, vcc
	s_cbranch_execz .LBB112_17
; %bb.16:
	v_mul_lo_u32 v6, v1, s12
	v_mul_lo_u32 v7, v0, s13
	v_mad_u64_u32 v[0:1], s[0:1], v0, s12, 0
	v_mov_b32_e32 v4, s24
	v_mov_b32_e32 v5, s25
	v_add3_u32 v1, v1, v7, v6
	v_lshl_add_u64 v[0:1], v[0:1], 2, v[4:5]
	v_lshl_add_u64 v[0:1], v[2:3], 2, v[0:1]
	global_atomic_add_f32 v[0:1], v16, off
.LBB112_17:
	s_endpgm
	.section	.rodata,"a",@progbits
	.p2align	6, 0x0
	.amdhsa_kernel _ZN2at6native12_GLOBAL__N_137compute_grad_weight_atomic_accumulateIN3c108BFloat16EflEEvPKT1_PKT_S7_llS7_PKlS7_S7_S7_PT0_ll
		.amdhsa_group_segment_fixed_size 0
		.amdhsa_private_segment_fixed_size 0
		.amdhsa_kernarg_size 360
		.amdhsa_user_sgpr_count 2
		.amdhsa_user_sgpr_dispatch_ptr 0
		.amdhsa_user_sgpr_queue_ptr 0
		.amdhsa_user_sgpr_kernarg_segment_ptr 1
		.amdhsa_user_sgpr_dispatch_id 0
		.amdhsa_user_sgpr_kernarg_preload_length 0
		.amdhsa_user_sgpr_kernarg_preload_offset 0
		.amdhsa_user_sgpr_private_segment_size 0
		.amdhsa_uses_dynamic_stack 0
		.amdhsa_enable_private_segment 0
		.amdhsa_system_sgpr_workgroup_id_x 1
		.amdhsa_system_sgpr_workgroup_id_y 0
		.amdhsa_system_sgpr_workgroup_id_z 0
		.amdhsa_system_sgpr_workgroup_info 0
		.amdhsa_system_vgpr_workitem_id 0
		.amdhsa_next_free_vgpr 23
		.amdhsa_next_free_sgpr 28
		.amdhsa_accum_offset 24
		.amdhsa_reserve_vcc 1
		.amdhsa_float_round_mode_32 0
		.amdhsa_float_round_mode_16_64 0
		.amdhsa_float_denorm_mode_32 3
		.amdhsa_float_denorm_mode_16_64 3
		.amdhsa_dx10_clamp 1
		.amdhsa_ieee_mode 1
		.amdhsa_fp16_overflow 0
		.amdhsa_tg_split 0
		.amdhsa_exception_fp_ieee_invalid_op 0
		.amdhsa_exception_fp_denorm_src 0
		.amdhsa_exception_fp_ieee_div_zero 0
		.amdhsa_exception_fp_ieee_overflow 0
		.amdhsa_exception_fp_ieee_underflow 0
		.amdhsa_exception_fp_ieee_inexact 0
		.amdhsa_exception_int_div_zero 0
	.end_amdhsa_kernel
	.section	.text._ZN2at6native12_GLOBAL__N_137compute_grad_weight_atomic_accumulateIN3c108BFloat16EflEEvPKT1_PKT_S7_llS7_PKlS7_S7_S7_PT0_ll,"axG",@progbits,_ZN2at6native12_GLOBAL__N_137compute_grad_weight_atomic_accumulateIN3c108BFloat16EflEEvPKT1_PKT_S7_llS7_PKlS7_S7_S7_PT0_ll,comdat
.Lfunc_end112:
	.size	_ZN2at6native12_GLOBAL__N_137compute_grad_weight_atomic_accumulateIN3c108BFloat16EflEEvPKT1_PKT_S7_llS7_PKlS7_S7_S7_PT0_ll, .Lfunc_end112-_ZN2at6native12_GLOBAL__N_137compute_grad_weight_atomic_accumulateIN3c108BFloat16EflEEvPKT1_PKT_S7_llS7_PKlS7_S7_S7_PT0_ll
                                        ; -- End function
	.section	.AMDGPU.csdata,"",@progbits
; Kernel info:
; codeLenInByte = 1692
; NumSgprs: 34
; NumVgprs: 23
; NumAgprs: 0
; TotalNumVgprs: 23
; ScratchSize: 0
; MemoryBound: 0
; FloatMode: 240
; IeeeMode: 1
; LDSByteSize: 0 bytes/workgroup (compile time only)
; SGPRBlocks: 4
; VGPRBlocks: 2
; NumSGPRsForWavesPerEU: 34
; NumVGPRsForWavesPerEU: 23
; AccumOffset: 24
; Occupancy: 8
; WaveLimiterHint : 1
; COMPUTE_PGM_RSRC2:SCRATCH_EN: 0
; COMPUTE_PGM_RSRC2:USER_SGPR: 2
; COMPUTE_PGM_RSRC2:TRAP_HANDLER: 0
; COMPUTE_PGM_RSRC2:TGID_X_EN: 1
; COMPUTE_PGM_RSRC2:TGID_Y_EN: 0
; COMPUTE_PGM_RSRC2:TGID_Z_EN: 0
; COMPUTE_PGM_RSRC2:TIDIG_COMP_CNT: 0
; COMPUTE_PGM_RSRC3_GFX90A:ACCUM_OFFSET: 5
; COMPUTE_PGM_RSRC3_GFX90A:TG_SPLIT: 0
	.section	.text._ZN2at6native12_GLOBAL__N_124compute_grad_weight_bagsIN3c108BFloat16ElEEvPKT0_PKT_S7_S7_lliS7_SA_lS7_PKlPNS_14AccumulateTypeIS8_Lb1EE4typeEl,"axG",@progbits,_ZN2at6native12_GLOBAL__N_124compute_grad_weight_bagsIN3c108BFloat16ElEEvPKT0_PKT_S7_S7_lliS7_SA_lS7_PKlPNS_14AccumulateTypeIS8_Lb1EE4typeEl,comdat
	.globl	_ZN2at6native12_GLOBAL__N_124compute_grad_weight_bagsIN3c108BFloat16ElEEvPKT0_PKT_S7_S7_lliS7_SA_lS7_PKlPNS_14AccumulateTypeIS8_Lb1EE4typeEl ; -- Begin function _ZN2at6native12_GLOBAL__N_124compute_grad_weight_bagsIN3c108BFloat16ElEEvPKT0_PKT_S7_S7_lliS7_SA_lS7_PKlPNS_14AccumulateTypeIS8_Lb1EE4typeEl
	.p2align	8
	.type	_ZN2at6native12_GLOBAL__N_124compute_grad_weight_bagsIN3c108BFloat16ElEEvPKT0_PKT_S7_S7_lliS7_SA_lS7_PKlPNS_14AccumulateTypeIS8_Lb1EE4typeEl,@function
_ZN2at6native12_GLOBAL__N_124compute_grad_weight_bagsIN3c108BFloat16ElEEvPKT0_PKT_S7_S7_lliS7_SA_lS7_PKlPNS_14AccumulateTypeIS8_Lb1EE4typeEl: ; @_ZN2at6native12_GLOBAL__N_124compute_grad_weight_bagsIN3c108BFloat16ElEEvPKT0_PKT_S7_S7_lliS7_SA_lS7_PKlPNS_14AccumulateTypeIS8_Lb1EE4typeEl
; %bb.0:
	s_load_dword s3, s[0:1], 0x7c
	s_load_dwordx4 s[4:7], s[0:1], 0x58
	s_load_dwordx2 s[8:9], s[0:1], 0x68
	v_mov_b32_e32 v1, 0
	v_mov_b32_e32 v2, s2
	s_waitcnt lgkmcnt(0)
	s_and_b32 s3, s3, 0xffff
	v_mad_u64_u32 v[4:5], s[2:3], s3, v2, v[0:1]
	v_or_b32_e32 v3, s9, v5
	v_mov_b32_e32 v2, v1
	v_cmp_ne_u64_e32 vcc, 0, v[2:3]
                                        ; implicit-def: $vgpr2_vgpr3
	s_and_saveexec_b64 s[2:3], vcc
	s_xor_b64 s[10:11], exec, s[2:3]
	s_cbranch_execz .LBB113_2
; %bb.1:
	s_ashr_i32 s12, s9, 31
	s_add_u32 s2, s8, s12
	s_mov_b32 s13, s12
	s_addc_u32 s3, s9, s12
	s_xor_b64 s[14:15], s[2:3], s[12:13]
	v_cvt_f32_u32_e32 v0, s14
	v_cvt_f32_u32_e32 v2, s15
	s_sub_u32 s2, 0, s14
	s_subb_u32 s3, 0, s15
	v_fmamk_f32 v0, v2, 0x4f800000, v0
	v_rcp_f32_e32 v0, v0
	s_nop 0
	v_mul_f32_e32 v0, 0x5f7ffffc, v0
	v_mul_f32_e32 v2, 0x2f800000, v0
	v_trunc_f32_e32 v2, v2
	v_fmamk_f32 v0, v2, 0xcf800000, v0
	v_cvt_u32_f32_e32 v6, v2
	v_cvt_u32_f32_e32 v7, v0
	v_mul_lo_u32 v0, s2, v6
	v_mul_hi_u32 v3, s2, v7
	v_mul_lo_u32 v2, s3, v7
	v_add_u32_e32 v0, v3, v0
	v_mul_lo_u32 v8, s2, v7
	v_add_u32_e32 v9, v0, v2
	v_mul_hi_u32 v3, v7, v9
	v_mul_lo_u32 v2, v7, v9
	v_mul_hi_u32 v0, v7, v8
	v_lshl_add_u64 v[2:3], v[0:1], 0, v[2:3]
	v_mul_hi_u32 v0, v6, v8
	v_mul_lo_u32 v8, v6, v8
	v_add_co_u32_e32 v2, vcc, v2, v8
	v_mul_hi_u32 v10, v6, v9
	s_nop 0
	v_addc_co_u32_e32 v0, vcc, v3, v0, vcc
	v_mul_lo_u32 v2, v6, v9
	s_nop 0
	v_addc_co_u32_e32 v3, vcc, 0, v10, vcc
	v_lshl_add_u64 v[2:3], v[0:1], 0, v[2:3]
	v_add_co_u32_e32 v7, vcc, v7, v2
	v_mul_hi_u32 v2, s2, v7
	s_nop 0
	v_addc_co_u32_e32 v6, vcc, v6, v3, vcc
	v_mul_lo_u32 v0, s2, v6
	v_add_u32_e32 v0, v2, v0
	v_mul_lo_u32 v2, s3, v7
	v_add_u32_e32 v8, v0, v2
	v_mul_lo_u32 v0, s2, v7
	v_mul_hi_u32 v10, v6, v0
	v_mul_lo_u32 v11, v6, v0
	v_mul_hi_u32 v3, v7, v8
	;; [unrolled: 2-line block ×3, first 2 shown]
	v_lshl_add_u64 v[2:3], v[0:1], 0, v[2:3]
	v_add_co_u32_e32 v0, vcc, v2, v11
	v_mul_hi_u32 v9, v6, v8
	s_nop 0
	v_addc_co_u32_e32 v0, vcc, v3, v10, vcc
	v_mul_lo_u32 v2, v6, v8
	s_nop 0
	v_addc_co_u32_e32 v3, vcc, 0, v9, vcc
	v_lshl_add_u64 v[2:3], v[0:1], 0, v[2:3]
	v_add_co_u32_e32 v10, vcc, v7, v2
	v_ashrrev_i32_e32 v2, 31, v5
	s_nop 0
	v_addc_co_u32_e32 v8, vcc, v6, v3, vcc
	v_mov_b32_e32 v3, v2
	v_lshl_add_u64 v[6:7], v[4:5], 0, v[2:3]
	v_xor_b32_e32 v12, v6, v2
	v_xor_b32_e32 v3, v7, v2
	v_mad_u64_u32 v[6:7], s[2:3], v12, v8, 0
	v_mul_hi_u32 v0, v12, v10
	v_lshl_add_u64 v[6:7], v[0:1], 0, v[6:7]
	v_mad_u64_u32 v[10:11], s[2:3], v3, v10, 0
	v_add_co_u32_e32 v0, vcc, v6, v10
	v_mad_u64_u32 v[8:9], s[2:3], v3, v8, 0
	s_nop 0
	v_addc_co_u32_e32 v0, vcc, v7, v11, vcc
	s_nop 1
	v_addc_co_u32_e32 v9, vcc, 0, v9, vcc
	v_lshl_add_u64 v[0:1], v[0:1], 0, v[8:9]
	v_mul_lo_u32 v8, s15, v0
	v_mul_lo_u32 v9, s14, v1
	v_mad_u64_u32 v[6:7], s[2:3], s14, v0, 0
	v_add3_u32 v10, v7, v9, v8
	v_sub_u32_e32 v7, v3, v10
	v_mov_b32_e32 v8, s15
	v_sub_co_u32_e32 v11, vcc, v12, v6
	s_nop 1
	v_subb_co_u32_e64 v6, s[2:3], v7, v8, vcc
	v_subrev_co_u32_e64 v7, s[2:3], s14, v11
	v_subb_co_u32_e32 v3, vcc, v3, v10, vcc
	s_nop 0
	v_subbrev_co_u32_e64 v6, s[2:3], 0, v6, s[2:3]
	v_cmp_le_u32_e64 s[2:3], s15, v6
	v_cmp_le_u32_e32 vcc, s15, v3
	s_nop 0
	v_cndmask_b32_e64 v8, 0, -1, s[2:3]
	v_cmp_le_u32_e64 s[2:3], s14, v7
	s_nop 1
	v_cndmask_b32_e64 v7, 0, -1, s[2:3]
	v_cmp_eq_u32_e64 s[2:3], s15, v6
	s_nop 1
	v_cndmask_b32_e64 v12, v8, v7, s[2:3]
	v_lshl_add_u64 v[6:7], v[0:1], 0, 2
	v_lshl_add_u64 v[8:9], v[0:1], 0, 1
	v_cmp_ne_u32_e64 s[2:3], 0, v12
	s_nop 1
	v_cndmask_b32_e64 v7, v9, v7, s[2:3]
	v_cndmask_b32_e64 v9, 0, -1, vcc
	v_cmp_le_u32_e32 vcc, s14, v11
	s_nop 1
	v_cndmask_b32_e64 v10, 0, -1, vcc
	v_cmp_eq_u32_e32 vcc, s15, v3
	s_nop 1
	v_cndmask_b32_e32 v3, v9, v10, vcc
	v_cmp_ne_u32_e32 vcc, 0, v3
	v_cndmask_b32_e64 v3, v8, v6, s[2:3]
	s_nop 0
	v_cndmask_b32_e32 v0, v0, v3, vcc
	v_xor_b32_e32 v3, s12, v2
	v_cndmask_b32_e32 v1, v1, v7, vcc
	v_xor_b32_e32 v0, v0, v3
	v_xor_b32_e32 v1, v1, v3
	v_sub_co_u32_e32 v2, vcc, v0, v3
	s_nop 1
	v_subb_co_u32_e32 v3, vcc, v1, v3, vcc
.LBB113_2:
	s_or_saveexec_b64 s[2:3], s[10:11]
	s_load_dwordx2 s[4:5], s[4:5], 0x0
	s_xor_b64 exec, exec, s[2:3]
	s_cbranch_execz .LBB113_4
; %bb.3:
	v_cvt_f32_u32_e32 v0, s8
	s_sub_i32 s10, 0, s8
	v_rcp_iflag_f32_e32 v0, v0
	s_nop 0
	v_mul_f32_e32 v0, 0x4f7ffffe, v0
	v_cvt_u32_f32_e32 v0, v0
	v_mul_lo_u32 v1, s10, v0
	v_mul_hi_u32 v1, v0, v1
	v_add_u32_e32 v0, v0, v1
	v_mul_hi_u32 v0, v4, v0
	v_mul_lo_u32 v1, v0, s8
	v_sub_u32_e32 v1, v4, v1
	v_add_u32_e32 v2, 1, v0
	v_subrev_u32_e32 v3, s8, v1
	v_cmp_le_u32_e32 vcc, s8, v1
	s_nop 1
	v_cndmask_b32_e32 v1, v1, v3, vcc
	v_cndmask_b32_e32 v0, v0, v2, vcc
	v_add_u32_e32 v2, 1, v0
	v_cmp_le_u32_e32 vcc, s8, v1
	v_mov_b32_e32 v3, 0
	s_nop 0
	v_cndmask_b32_e32 v2, v0, v2, vcc
.LBB113_4:
	s_or_b64 exec, exec, s[2:3]
	s_load_dwordx4 s[24:27], s[0:1], 0x20
	v_mul_lo_u32 v6, v3, s8
	v_mul_lo_u32 v7, v2, s9
	v_mad_u64_u32 v[0:1], s[2:3], v2, s8, 0
	v_add3_u32 v1, v1, v7, v6
	v_sub_co_u32_e32 v0, vcc, v4, v0
	s_waitcnt lgkmcnt(0)
	v_cmp_gt_i64_e64 s[2:3], s[4:5], v[2:3]
	v_subb_co_u32_e32 v1, vcc, v5, v1, vcc
	v_cmp_gt_i64_e32 vcc, s[26:27], v[0:1]
	s_and_b64 s[2:3], vcc, s[2:3]
	s_and_saveexec_b64 s[8:9], s[2:3]
	s_cbranch_execz .LBB113_18
; %bb.5:
	s_load_dwordx8 s[8:15], s[0:1], 0x38
	s_load_dwordx8 s[16:23], s[0:1], 0x0
	s_add_u32 s2, s4, -1
	s_addc_u32 s3, s5, -1
	v_cmp_ne_u64_e32 vcc, s[2:3], v[2:3]
	s_waitcnt lgkmcnt(0)
	v_mov_b32_e32 v4, s14
	v_mov_b32_e32 v5, s15
	v_lshl_add_u64 v[8:9], v[2:3], 3, v[4:5]
	global_load_dwordx2 v[4:5], v[8:9], off
	v_mov_b64_e32 v[6:7], s[24:25]
	s_and_saveexec_b64 s[2:3], vcc
	s_cbranch_execz .LBB113_7
; %bb.6:
	global_load_dwordx2 v[6:7], v[8:9], off offset:8
.LBB113_7:
	s_or_b64 exec, exec, s[2:3]
	s_waitcnt vmcnt(0)
	v_cmp_lt_i32_e32 vcc, v4, v6
	v_mov_b32_e32 v5, 0
	s_and_saveexec_b64 s[14:15], vcc
	s_cbranch_execz .LBB113_17
; %bb.8:
	s_load_dword s4, s[0:1], 0x30
	s_cmp_lg_u64 s[22:23], 0
	s_cselect_b64 s[0:1], -1, 0
	s_cmp_lg_u64 s[10:11], 0
	v_ashrrev_i32_e32 v5, 31, v4
	s_cselect_b64 s[2:3], -1, 0
	s_waitcnt lgkmcnt(0)
	s_cmp_lg_u32 s4, 0
	v_lshlrev_b64 v[12:13], 3, v[4:5]
	v_cndmask_b32_e64 v5, 0, 1, s[0:1]
	v_cmp_ne_u32_e64 s[0:1], 1, v5
	v_cndmask_b32_e64 v5, 0, 1, s[2:3]
	s_cselect_b64 s[4:5], -1, 0
	v_mov_b32_e32 v8, s18
	v_mov_b32_e32 v9, s19
	v_cmp_ne_u32_e64 s[2:3], 1, v5
	v_cndmask_b32_e64 v5, 0, 1, s[4:5]
	v_lshl_add_u64 v[8:9], v[0:1], 1, v[8:9]
	s_mov_b64 s[18:19], 0
	s_mov_b32 s24, s26
	v_lshl_add_u64 v[10:11], s[16:17], 0, v[12:13]
	v_lshl_add_u64 v[12:13], s[22:23], 0, v[12:13]
	v_mov_b32_e32 v14, 0
	v_cmp_ne_u32_e64 s[4:5], 1, v5
	v_mov_b32_e32 v5, 0
	s_branch .LBB113_10
.LBB113_9:                              ;   in Loop: Header=BB113_10 Depth=1
	v_add_u32_e32 v4, 1, v4
	v_cmp_ge_i32_e32 vcc, v4, v6
	v_fmac_f32_e32 v5, v7, v17
	v_lshl_add_u64 v[10:11], v[10:11], 0, 8
	s_or_b64 s[18:19], vcc, s[18:19]
	v_lshl_add_u64 v[12:13], v[12:13], 0, 8
	s_andn2_b64 exec, exec, s[18:19]
	s_cbranch_execz .LBB113_16
.LBB113_10:                             ; =>This Inner Loop Header: Depth=1
	global_load_dword v18, v[10:11], off
	s_and_b64 vcc, exec, s[0:1]
	s_waitcnt vmcnt(0)
	v_ashrrev_i32_e32 v19, 31, v18
	v_lshl_add_u64 v[16:17], v[18:19], 3, s[20:21]
	global_load_dwordx2 v[16:17], v[16:17], off
	s_cbranch_vccnz .LBB113_15
; %bb.11:                               ;   in Loop: Header=BB113_10 Depth=1
	global_load_dwordx2 v[20:21], v[12:13], off
	s_waitcnt vmcnt(0)
	v_cvt_f64_i32_e32 v[22:23], v21
	v_cvt_f64_u32_e32 v[20:21], v20
	v_ldexp_f64 v[22:23], v[22:23], 32
	v_add_f64 v[20:21], v[22:23], v[20:21]
	v_div_scale_f64 v[22:23], s[16:17], v[20:21], v[20:21], 1.0
	v_rcp_f64_e32 v[24:25], v[22:23]
	v_div_scale_f64 v[26:27], vcc, 1.0, v[20:21], 1.0
	v_fma_f64 v[28:29], -v[22:23], v[24:25], 1.0
	v_fmac_f64_e32 v[24:25], v[24:25], v[28:29]
	v_fma_f64 v[28:29], -v[22:23], v[24:25], 1.0
	v_fmac_f64_e32 v[24:25], v[24:25], v[28:29]
	v_mul_f64 v[28:29], v[26:27], v[24:25]
	v_fma_f64 v[22:23], -v[22:23], v[28:29], v[26:27]
	v_div_fmas_f64 v[22:23], v[22:23], v[24:25], v[28:29]
	v_div_fixup_f64 v[20:21], v[22:23], v[20:21], 1.0
	s_and_b64 vcc, exec, s[2:3]
	v_cvt_f32_f64_e32 v7, v[20:21]
	s_cbranch_vccnz .LBB113_13
.LBB113_12:                             ;   in Loop: Header=BB113_10 Depth=1
	v_mul_lo_u32 v15, v19, s12
	v_mul_lo_u32 v20, v18, s13
	v_mad_u64_u32 v[18:19], s[16:17], v18, s12, 0
	v_add3_u32 v19, v19, v20, v15
	v_lshl_add_u64 v[18:19], v[18:19], 1, s[10:11]
	global_load_ushort v15, v[18:19], off
	s_waitcnt vmcnt(0)
	v_lshlrev_b32_e32 v15, 16, v15
	v_mul_f32_e32 v7, v7, v15
.LBB113_13:                             ;   in Loop: Header=BB113_10 Depth=1
	s_waitcnt vmcnt(0)
	v_mul_lo_u32 v15, s24, v16
	v_mul_lo_u32 v17, 0, v17
	v_mad_u64_u32 v[18:19], s[16:17], 0, v16, 0
	v_add3_u32 v19, v19, v17, v15
	v_ashrrev_i64 v[18:19], 31, v[18:19]
	v_lshl_add_u64 v[18:19], v[8:9], 0, v[18:19]
	global_load_ushort v15, v[18:19], off
	s_and_b64 vcc, exec, s[4:5]
	s_waitcnt vmcnt(0)
	v_lshlrev_b32_e32 v17, 16, v15
	s_cbranch_vccnz .LBB113_9
; %bb.14:                               ;   in Loop: Header=BB113_10 Depth=1
	v_mov_b32_e32 v15, v16
	v_ashrrev_i64 v[18:19], 29, v[14:15]
	v_lshl_add_u64 v[18:19], s[8:9], 0, v[18:19]
	global_load_dwordx2 v[18:19], v[18:19], off
	s_waitcnt vmcnt(0)
	v_xor_b32_e32 v15, v18, v19
	v_ffbh_i32_e32 v16, v19
	v_ashrrev_i32_e32 v15, 31, v15
	v_add_u32_e32 v16, -1, v16
	v_add_u32_e32 v15, 32, v15
	v_min_u32_e32 v15, v16, v15
	v_lshlrev_b64 v[18:19], v15, v[18:19]
	v_min_u32_e32 v16, 1, v18
	v_or_b32_e32 v16, v19, v16
	v_cvt_f32_i32_e32 v16, v16
	v_sub_u32_e32 v15, 32, v15
	v_ldexp_f32 v15, v16, v15
	v_div_scale_f32 v16, s[16:17], v15, v15, v17
	v_rcp_f32_e32 v18, v16
	v_div_scale_f32 v19, vcc, v17, v15, v17
	v_fma_f32 v20, -v16, v18, 1.0
	v_fmac_f32_e32 v18, v20, v18
	v_mul_f32_e32 v20, v19, v18
	v_fma_f32 v21, -v16, v20, v19
	v_fmac_f32_e32 v20, v21, v18
	v_fma_f32 v16, -v16, v20, v19
	v_div_fmas_f32 v16, v16, v18, v20
	v_div_fixup_f32 v17, v16, v15, v17
	s_branch .LBB113_9
.LBB113_15:                             ;   in Loop: Header=BB113_10 Depth=1
	v_mov_b64_e32 v[20:21], 1.0
	s_and_b64 vcc, exec, s[2:3]
	v_cvt_f32_f64_e32 v7, v[20:21]
	s_cbranch_vccz .LBB113_12
	s_branch .LBB113_13
.LBB113_16:
	s_or_b64 exec, exec, s[18:19]
.LBB113_17:
	s_or_b64 exec, exec, s[14:15]
	v_mul_lo_u32 v4, v3, s26
	v_mul_lo_u32 v8, v2, s27
	v_mad_u64_u32 v[2:3], s[0:1], v2, s26, 0
	v_mov_b32_e32 v6, s6
	v_mov_b32_e32 v7, s7
	v_add3_u32 v3, v3, v8, v4
	v_lshl_add_u64 v[2:3], v[2:3], 2, v[6:7]
	v_lshl_add_u64 v[0:1], v[0:1], 2, v[2:3]
	global_store_dword v[0:1], v5, off
.LBB113_18:
	s_endpgm
	.section	.rodata,"a",@progbits
	.p2align	6, 0x0
	.amdhsa_kernel _ZN2at6native12_GLOBAL__N_124compute_grad_weight_bagsIN3c108BFloat16ElEEvPKT0_PKT_S7_S7_lliS7_SA_lS7_PKlPNS_14AccumulateTypeIS8_Lb1EE4typeEl
		.amdhsa_group_segment_fixed_size 0
		.amdhsa_private_segment_fixed_size 0
		.amdhsa_kernarg_size 368
		.amdhsa_user_sgpr_count 2
		.amdhsa_user_sgpr_dispatch_ptr 0
		.amdhsa_user_sgpr_queue_ptr 0
		.amdhsa_user_sgpr_kernarg_segment_ptr 1
		.amdhsa_user_sgpr_dispatch_id 0
		.amdhsa_user_sgpr_kernarg_preload_length 0
		.amdhsa_user_sgpr_kernarg_preload_offset 0
		.amdhsa_user_sgpr_private_segment_size 0
		.amdhsa_uses_dynamic_stack 0
		.amdhsa_enable_private_segment 0
		.amdhsa_system_sgpr_workgroup_id_x 1
		.amdhsa_system_sgpr_workgroup_id_y 0
		.amdhsa_system_sgpr_workgroup_id_z 0
		.amdhsa_system_sgpr_workgroup_info 0
		.amdhsa_system_vgpr_workitem_id 0
		.amdhsa_next_free_vgpr 30
		.amdhsa_next_free_sgpr 28
		.amdhsa_accum_offset 32
		.amdhsa_reserve_vcc 1
		.amdhsa_float_round_mode_32 0
		.amdhsa_float_round_mode_16_64 0
		.amdhsa_float_denorm_mode_32 3
		.amdhsa_float_denorm_mode_16_64 3
		.amdhsa_dx10_clamp 1
		.amdhsa_ieee_mode 1
		.amdhsa_fp16_overflow 0
		.amdhsa_tg_split 0
		.amdhsa_exception_fp_ieee_invalid_op 0
		.amdhsa_exception_fp_denorm_src 0
		.amdhsa_exception_fp_ieee_div_zero 0
		.amdhsa_exception_fp_ieee_overflow 0
		.amdhsa_exception_fp_ieee_underflow 0
		.amdhsa_exception_fp_ieee_inexact 0
		.amdhsa_exception_int_div_zero 0
	.end_amdhsa_kernel
	.section	.text._ZN2at6native12_GLOBAL__N_124compute_grad_weight_bagsIN3c108BFloat16ElEEvPKT0_PKT_S7_S7_lliS7_SA_lS7_PKlPNS_14AccumulateTypeIS8_Lb1EE4typeEl,"axG",@progbits,_ZN2at6native12_GLOBAL__N_124compute_grad_weight_bagsIN3c108BFloat16ElEEvPKT0_PKT_S7_S7_lliS7_SA_lS7_PKlPNS_14AccumulateTypeIS8_Lb1EE4typeEl,comdat
.Lfunc_end113:
	.size	_ZN2at6native12_GLOBAL__N_124compute_grad_weight_bagsIN3c108BFloat16ElEEvPKT0_PKT_S7_S7_lliS7_SA_lS7_PKlPNS_14AccumulateTypeIS8_Lb1EE4typeEl, .Lfunc_end113-_ZN2at6native12_GLOBAL__N_124compute_grad_weight_bagsIN3c108BFloat16ElEEvPKT0_PKT_S7_S7_lliS7_SA_lS7_PKlPNS_14AccumulateTypeIS8_Lb1EE4typeEl
                                        ; -- End function
	.section	.AMDGPU.csdata,"",@progbits
; Kernel info:
; codeLenInByte = 1868
; NumSgprs: 34
; NumVgprs: 30
; NumAgprs: 0
; TotalNumVgprs: 30
; ScratchSize: 0
; MemoryBound: 0
; FloatMode: 240
; IeeeMode: 1
; LDSByteSize: 0 bytes/workgroup (compile time only)
; SGPRBlocks: 4
; VGPRBlocks: 3
; NumSGPRsForWavesPerEU: 34
; NumVGPRsForWavesPerEU: 30
; AccumOffset: 32
; Occupancy: 8
; WaveLimiterHint : 1
; COMPUTE_PGM_RSRC2:SCRATCH_EN: 0
; COMPUTE_PGM_RSRC2:USER_SGPR: 2
; COMPUTE_PGM_RSRC2:TRAP_HANDLER: 0
; COMPUTE_PGM_RSRC2:TGID_X_EN: 1
; COMPUTE_PGM_RSRC2:TGID_Y_EN: 0
; COMPUTE_PGM_RSRC2:TGID_Z_EN: 0
; COMPUTE_PGM_RSRC2:TIDIG_COMP_CNT: 0
; COMPUTE_PGM_RSRC3_GFX90A:ACCUM_OFFSET: 7
; COMPUTE_PGM_RSRC3_GFX90A:TG_SPLIT: 0
	.section	.text._ZN2at6native12_GLOBAL__N_119compute_grad_weightIN3c108BFloat16ElEEvPKT0_PKT_S7_llS7_PKlPNS_14AccumulateTypeIS8_Lb1EE4typeEl,"axG",@progbits,_ZN2at6native12_GLOBAL__N_119compute_grad_weightIN3c108BFloat16ElEEvPKT0_PKT_S7_llS7_PKlPNS_14AccumulateTypeIS8_Lb1EE4typeEl,comdat
	.globl	_ZN2at6native12_GLOBAL__N_119compute_grad_weightIN3c108BFloat16ElEEvPKT0_PKT_S7_llS7_PKlPNS_14AccumulateTypeIS8_Lb1EE4typeEl ; -- Begin function _ZN2at6native12_GLOBAL__N_119compute_grad_weightIN3c108BFloat16ElEEvPKT0_PKT_S7_llS7_PKlPNS_14AccumulateTypeIS8_Lb1EE4typeEl
	.p2align	8
	.type	_ZN2at6native12_GLOBAL__N_119compute_grad_weightIN3c108BFloat16ElEEvPKT0_PKT_S7_llS7_PKlPNS_14AccumulateTypeIS8_Lb1EE4typeEl,@function
_ZN2at6native12_GLOBAL__N_119compute_grad_weightIN3c108BFloat16ElEEvPKT0_PKT_S7_llS7_PKlPNS_14AccumulateTypeIS8_Lb1EE4typeEl: ; @_ZN2at6native12_GLOBAL__N_119compute_grad_weightIN3c108BFloat16ElEEvPKT0_PKT_S7_llS7_PKlPNS_14AccumulateTypeIS8_Lb1EE4typeEl
; %bb.0:
	s_load_dword s3, s[0:1], 0x54
	s_load_dwordx2 s[20:21], s[0:1], 0x40
	s_load_dwordx16 s[4:19], s[0:1], 0x0
	v_mov_b32_e32 v1, 0
	v_mov_b32_e32 v2, s2
	s_waitcnt lgkmcnt(0)
	s_and_b32 s0, s3, 0xffff
	v_mad_u64_u32 v[2:3], s[0:1], s0, v2, v[0:1]
	v_or_b32_e32 v5, s21, v3
	v_mov_b32_e32 v4, v1
	v_cmp_ne_u64_e32 vcc, 0, v[4:5]
                                        ; implicit-def: $vgpr4_vgpr5
	s_and_saveexec_b64 s[0:1], vcc
	s_xor_b64 s[2:3], exec, s[0:1]
	s_cbranch_execz .LBB114_2
; %bb.1:
	s_ashr_i32 s22, s21, 31
	s_add_u32 s0, s20, s22
	s_mov_b32 s23, s22
	s_addc_u32 s1, s21, s22
	s_xor_b64 s[24:25], s[0:1], s[22:23]
	v_cvt_f32_u32_e32 v0, s24
	v_cvt_f32_u32_e32 v4, s25
	s_sub_u32 s0, 0, s24
	s_subb_u32 s1, 0, s25
	v_fmamk_f32 v0, v4, 0x4f800000, v0
	v_rcp_f32_e32 v0, v0
	s_nop 0
	v_mul_f32_e32 v0, 0x5f7ffffc, v0
	v_mul_f32_e32 v4, 0x2f800000, v0
	v_trunc_f32_e32 v4, v4
	v_fmamk_f32 v0, v4, 0xcf800000, v0
	v_cvt_u32_f32_e32 v6, v4
	v_cvt_u32_f32_e32 v7, v0
	v_mul_lo_u32 v0, s0, v6
	v_mul_hi_u32 v5, s0, v7
	v_mul_lo_u32 v4, s1, v7
	v_add_u32_e32 v0, v5, v0
	v_mul_lo_u32 v8, s0, v7
	v_add_u32_e32 v9, v0, v4
	v_mul_hi_u32 v5, v7, v9
	v_mul_lo_u32 v4, v7, v9
	v_mul_hi_u32 v0, v7, v8
	v_lshl_add_u64 v[4:5], v[0:1], 0, v[4:5]
	v_mul_hi_u32 v0, v6, v8
	v_mul_lo_u32 v8, v6, v8
	v_add_co_u32_e32 v4, vcc, v4, v8
	v_mul_hi_u32 v10, v6, v9
	s_nop 0
	v_addc_co_u32_e32 v0, vcc, v5, v0, vcc
	v_mul_lo_u32 v4, v6, v9
	s_nop 0
	v_addc_co_u32_e32 v5, vcc, 0, v10, vcc
	v_lshl_add_u64 v[4:5], v[0:1], 0, v[4:5]
	v_add_co_u32_e32 v7, vcc, v7, v4
	v_mul_hi_u32 v4, s0, v7
	s_nop 0
	v_addc_co_u32_e32 v6, vcc, v6, v5, vcc
	v_mul_lo_u32 v0, s0, v6
	v_add_u32_e32 v0, v4, v0
	v_mul_lo_u32 v4, s1, v7
	v_add_u32_e32 v8, v0, v4
	v_mul_lo_u32 v0, s0, v7
	v_mul_hi_u32 v10, v6, v0
	v_mul_lo_u32 v11, v6, v0
	v_mul_hi_u32 v5, v7, v8
	;; [unrolled: 2-line block ×3, first 2 shown]
	v_lshl_add_u64 v[4:5], v[0:1], 0, v[4:5]
	v_add_co_u32_e32 v0, vcc, v4, v11
	v_mul_hi_u32 v9, v6, v8
	s_nop 0
	v_addc_co_u32_e32 v0, vcc, v5, v10, vcc
	v_mul_lo_u32 v4, v6, v8
	s_nop 0
	v_addc_co_u32_e32 v5, vcc, 0, v9, vcc
	v_lshl_add_u64 v[4:5], v[0:1], 0, v[4:5]
	v_add_co_u32_e32 v10, vcc, v7, v4
	v_ashrrev_i32_e32 v4, 31, v3
	s_nop 0
	v_addc_co_u32_e32 v8, vcc, v6, v5, vcc
	v_mov_b32_e32 v5, v4
	v_lshl_add_u64 v[6:7], v[2:3], 0, v[4:5]
	v_xor_b32_e32 v12, v6, v4
	v_xor_b32_e32 v5, v7, v4
	v_mad_u64_u32 v[6:7], s[0:1], v12, v8, 0
	v_mul_hi_u32 v0, v12, v10
	v_lshl_add_u64 v[6:7], v[0:1], 0, v[6:7]
	v_mad_u64_u32 v[10:11], s[0:1], v5, v10, 0
	v_add_co_u32_e32 v0, vcc, v6, v10
	v_mad_u64_u32 v[8:9], s[0:1], v5, v8, 0
	s_nop 0
	v_addc_co_u32_e32 v0, vcc, v7, v11, vcc
	s_nop 1
	v_addc_co_u32_e32 v9, vcc, 0, v9, vcc
	v_lshl_add_u64 v[0:1], v[0:1], 0, v[8:9]
	v_mul_lo_u32 v8, s25, v0
	v_mul_lo_u32 v9, s24, v1
	v_mad_u64_u32 v[6:7], s[0:1], s24, v0, 0
	v_add3_u32 v10, v7, v9, v8
	v_sub_u32_e32 v7, v5, v10
	v_mov_b32_e32 v8, s25
	v_sub_co_u32_e32 v11, vcc, v12, v6
	s_nop 1
	v_subb_co_u32_e64 v6, s[0:1], v7, v8, vcc
	v_subrev_co_u32_e64 v7, s[0:1], s24, v11
	v_subb_co_u32_e32 v5, vcc, v5, v10, vcc
	s_nop 0
	v_subbrev_co_u32_e64 v6, s[0:1], 0, v6, s[0:1]
	v_cmp_le_u32_e64 s[0:1], s25, v6
	v_cmp_le_u32_e32 vcc, s25, v5
	s_nop 0
	v_cndmask_b32_e64 v8, 0, -1, s[0:1]
	v_cmp_le_u32_e64 s[0:1], s24, v7
	s_nop 1
	v_cndmask_b32_e64 v7, 0, -1, s[0:1]
	v_cmp_eq_u32_e64 s[0:1], s25, v6
	s_nop 1
	v_cndmask_b32_e64 v12, v8, v7, s[0:1]
	v_lshl_add_u64 v[6:7], v[0:1], 0, 2
	v_lshl_add_u64 v[8:9], v[0:1], 0, 1
	v_cmp_ne_u32_e64 s[0:1], 0, v12
	s_nop 1
	v_cndmask_b32_e64 v7, v9, v7, s[0:1]
	v_cndmask_b32_e64 v9, 0, -1, vcc
	v_cmp_le_u32_e32 vcc, s24, v11
	s_nop 1
	v_cndmask_b32_e64 v10, 0, -1, vcc
	v_cmp_eq_u32_e32 vcc, s25, v5
	s_nop 1
	v_cndmask_b32_e32 v5, v9, v10, vcc
	v_cmp_ne_u32_e32 vcc, 0, v5
	v_cndmask_b32_e64 v5, v8, v6, s[0:1]
	s_nop 0
	v_cndmask_b32_e32 v0, v0, v5, vcc
	v_xor_b32_e32 v5, s22, v4
	v_cndmask_b32_e32 v1, v1, v7, vcc
	v_xor_b32_e32 v0, v0, v5
	v_xor_b32_e32 v1, v1, v5
	v_sub_co_u32_e32 v4, vcc, v0, v5
	s_nop 1
	v_subb_co_u32_e32 v5, vcc, v1, v5, vcc
.LBB114_2:
	s_or_saveexec_b64 s[0:1], s[2:3]
	s_load_dwordx2 s[2:3], s[16:17], 0x0
	s_xor_b64 exec, exec, s[0:1]
	s_cbranch_execz .LBB114_4
; %bb.3:
	v_cvt_f32_u32_e32 v0, s20
	s_sub_i32 s16, 0, s20
	v_rcp_iflag_f32_e32 v0, v0
	s_nop 0
	v_mul_f32_e32 v0, 0x4f7ffffe, v0
	v_cvt_u32_f32_e32 v0, v0
	v_mul_lo_u32 v1, s16, v0
	v_mul_hi_u32 v1, v0, v1
	v_add_u32_e32 v0, v0, v1
	v_mul_hi_u32 v0, v2, v0
	v_mul_lo_u32 v1, v0, s20
	v_sub_u32_e32 v1, v2, v1
	v_add_u32_e32 v4, 1, v0
	v_subrev_u32_e32 v5, s20, v1
	v_cmp_le_u32_e32 vcc, s20, v1
	s_nop 1
	v_cndmask_b32_e32 v1, v1, v5, vcc
	v_cndmask_b32_e32 v0, v0, v4, vcc
	v_add_u32_e32 v4, 1, v0
	v_cmp_le_u32_e32 vcc, s20, v1
	v_mov_b32_e32 v5, 0
	s_nop 0
	v_cndmask_b32_e32 v4, v0, v4, vcc
.LBB114_4:
	s_or_b64 exec, exec, s[0:1]
	v_mul_lo_u32 v6, v5, s20
	v_mul_lo_u32 v7, v4, s21
	v_mad_u64_u32 v[0:1], s[0:1], v4, s20, 0
	v_add3_u32 v1, v1, v7, v6
	v_sub_co_u32_e32 v0, vcc, v2, v0
	s_waitcnt lgkmcnt(0)
	v_cmp_gt_i64_e64 s[0:1], s[2:3], v[4:5]
	v_subb_co_u32_e32 v1, vcc, v3, v1, vcc
	v_cmp_gt_i64_e32 vcc, s[12:13], v[0:1]
	s_and_b64 s[0:1], vcc, s[0:1]
	s_and_saveexec_b64 s[16:17], s[0:1]
	s_cbranch_execz .LBB114_15
; %bb.5:
	v_mov_b32_e32 v2, s14
	v_mov_b32_e32 v3, s15
	v_lshl_add_u64 v[8:9], v[4:5], 3, v[2:3]
	global_load_dwordx2 v[2:3], v[8:9], off
	s_add_u32 s0, s2, -1
	s_addc_u32 s1, s3, -1
	v_cmp_ne_u64_e32 vcc, s[0:1], v[4:5]
	v_mov_b64_e32 v[6:7], s[10:11]
	s_and_saveexec_b64 s[0:1], vcc
	s_cbranch_execz .LBB114_7
; %bb.6:
	global_load_dwordx2 v[6:7], v[8:9], off offset:8
.LBB114_7:
	s_or_b64 exec, exec, s[0:1]
	s_waitcnt vmcnt(0)
	v_cmp_lt_i32_e32 vcc, v2, v6
	v_mov_b32_e32 v3, 0
	s_and_saveexec_b64 s[2:3], vcc
	s_cbranch_execz .LBB114_14
; %bb.8:
	s_cmp_lg_u64 s[8:9], 0
	v_ashrrev_i32_e32 v3, 31, v2
	s_cselect_b64 s[0:1], -1, 0
	v_mov_b32_e32 v8, s6
	v_mov_b32_e32 v9, s7
	v_lshlrev_b64 v[12:13], 3, v[2:3]
	v_cndmask_b32_e64 v7, 0, 1, s[0:1]
	v_lshl_add_u64 v[8:9], v[0:1], 1, v[8:9]
	s_mov_b64 s[6:7], 0
	v_lshl_add_u64 v[10:11], s[4:5], 0, v[12:13]
	v_lshl_add_u64 v[12:13], s[8:9], 0, v[12:13]
	v_mov_b32_e32 v3, 0
	v_cmp_ne_u32_e64 s[0:1], 1, v7
	s_branch .LBB114_11
.LBB114_9:                              ;   in Loop: Header=BB114_11 Depth=1
	global_load_dwordx2 v[16:17], v[12:13], off
	s_waitcnt vmcnt(0)
	v_xor_b32_e32 v18, v16, v17
	v_ffbh_i32_e32 v7, v17
	v_ashrrev_i32_e32 v18, 31, v18
	v_add_u32_e32 v7, -1, v7
	v_add_u32_e32 v18, 32, v18
	v_min_u32_e32 v7, v7, v18
	v_lshlrev_b64 v[16:17], v7, v[16:17]
	v_min_u32_e32 v16, 1, v16
	v_or_b32_e32 v16, v17, v16
	v_cvt_f32_i32_e32 v16, v16
	v_sub_u32_e32 v7, 32, v7
	v_ldexp_f32 v7, v16, v7
	v_div_scale_f32 v16, s[4:5], v7, v7, 1.0
	v_rcp_f32_e32 v17, v16
	v_div_scale_f32 v18, vcc, 1.0, v7, 1.0
	v_fma_f32 v19, -v16, v17, 1.0
	v_fmac_f32_e32 v17, v19, v17
	v_mul_f32_e32 v19, v18, v17
	v_fma_f32 v20, -v16, v19, v18
	v_fmac_f32_e32 v19, v20, v17
	v_fma_f32 v16, -v16, v19, v18
	v_div_fmas_f32 v16, v16, v17, v19
	v_div_fixup_f32 v7, v16, v7, 1.0
.LBB114_10:                             ;   in Loop: Header=BB114_11 Depth=1
	s_waitcnt vmcnt(0)
	v_mul_lo_u32 v16, v15, s12
	v_mul_lo_u32 v17, v14, s13
	v_mad_u64_u32 v[14:15], s[4:5], v14, s12, 0
	v_add3_u32 v15, v15, v17, v16
	v_lshl_add_u64 v[14:15], v[14:15], 1, v[8:9]
	global_load_ushort v14, v[14:15], off
	v_add_u32_e32 v2, 1, v2
	v_cmp_ge_i32_e32 vcc, v2, v6
	v_lshl_add_u64 v[10:11], v[10:11], 0, 8
	s_or_b64 s[6:7], vcc, s[6:7]
	v_lshl_add_u64 v[12:13], v[12:13], 0, 8
	s_waitcnt vmcnt(0)
	v_lshlrev_b32_e32 v14, 16, v14
	v_fmac_f32_e32 v3, v7, v14
	s_andn2_b64 exec, exec, s[6:7]
	s_cbranch_execz .LBB114_13
.LBB114_11:                             ; =>This Inner Loop Header: Depth=1
	global_load_dwordx2 v[14:15], v[10:11], off
	s_and_b64 vcc, exec, s[0:1]
	s_cbranch_vccz .LBB114_9
; %bb.12:                               ;   in Loop: Header=BB114_11 Depth=1
	v_mov_b32_e32 v7, 1.0
	s_branch .LBB114_10
.LBB114_13:
	s_or_b64 exec, exec, s[6:7]
.LBB114_14:
	s_or_b64 exec, exec, s[2:3]
	v_mul_lo_u32 v2, v5, s12
	v_mul_lo_u32 v8, v4, s13
	v_mad_u64_u32 v[4:5], s[0:1], v4, s12, 0
	v_mov_b32_e32 v6, s18
	v_mov_b32_e32 v7, s19
	v_add3_u32 v5, v5, v8, v2
	v_lshl_add_u64 v[4:5], v[4:5], 2, v[6:7]
	v_lshl_add_u64 v[0:1], v[0:1], 2, v[4:5]
	global_store_dword v[0:1], v3, off
.LBB114_15:
	s_endpgm
	.section	.rodata,"a",@progbits
	.p2align	6, 0x0
	.amdhsa_kernel _ZN2at6native12_GLOBAL__N_119compute_grad_weightIN3c108BFloat16ElEEvPKT0_PKT_S7_llS7_PKlPNS_14AccumulateTypeIS8_Lb1EE4typeEl
		.amdhsa_group_segment_fixed_size 0
		.amdhsa_private_segment_fixed_size 0
		.amdhsa_kernarg_size 328
		.amdhsa_user_sgpr_count 2
		.amdhsa_user_sgpr_dispatch_ptr 0
		.amdhsa_user_sgpr_queue_ptr 0
		.amdhsa_user_sgpr_kernarg_segment_ptr 1
		.amdhsa_user_sgpr_dispatch_id 0
		.amdhsa_user_sgpr_kernarg_preload_length 0
		.amdhsa_user_sgpr_kernarg_preload_offset 0
		.amdhsa_user_sgpr_private_segment_size 0
		.amdhsa_uses_dynamic_stack 0
		.amdhsa_enable_private_segment 0
		.amdhsa_system_sgpr_workgroup_id_x 1
		.amdhsa_system_sgpr_workgroup_id_y 0
		.amdhsa_system_sgpr_workgroup_id_z 0
		.amdhsa_system_sgpr_workgroup_info 0
		.amdhsa_system_vgpr_workitem_id 0
		.amdhsa_next_free_vgpr 21
		.amdhsa_next_free_sgpr 26
		.amdhsa_accum_offset 24
		.amdhsa_reserve_vcc 1
		.amdhsa_float_round_mode_32 0
		.amdhsa_float_round_mode_16_64 0
		.amdhsa_float_denorm_mode_32 3
		.amdhsa_float_denorm_mode_16_64 3
		.amdhsa_dx10_clamp 1
		.amdhsa_ieee_mode 1
		.amdhsa_fp16_overflow 0
		.amdhsa_tg_split 0
		.amdhsa_exception_fp_ieee_invalid_op 0
		.amdhsa_exception_fp_denorm_src 0
		.amdhsa_exception_fp_ieee_div_zero 0
		.amdhsa_exception_fp_ieee_overflow 0
		.amdhsa_exception_fp_ieee_underflow 0
		.amdhsa_exception_fp_ieee_inexact 0
		.amdhsa_exception_int_div_zero 0
	.end_amdhsa_kernel
	.section	.text._ZN2at6native12_GLOBAL__N_119compute_grad_weightIN3c108BFloat16ElEEvPKT0_PKT_S7_llS7_PKlPNS_14AccumulateTypeIS8_Lb1EE4typeEl,"axG",@progbits,_ZN2at6native12_GLOBAL__N_119compute_grad_weightIN3c108BFloat16ElEEvPKT0_PKT_S7_llS7_PKlPNS_14AccumulateTypeIS8_Lb1EE4typeEl,comdat
.Lfunc_end114:
	.size	_ZN2at6native12_GLOBAL__N_119compute_grad_weightIN3c108BFloat16ElEEvPKT0_PKT_S7_llS7_PKlPNS_14AccumulateTypeIS8_Lb1EE4typeEl, .Lfunc_end114-_ZN2at6native12_GLOBAL__N_119compute_grad_weightIN3c108BFloat16ElEEvPKT0_PKT_S7_llS7_PKlPNS_14AccumulateTypeIS8_Lb1EE4typeEl
                                        ; -- End function
	.section	.AMDGPU.csdata,"",@progbits
; Kernel info:
; codeLenInByte = 1512
; NumSgprs: 32
; NumVgprs: 21
; NumAgprs: 0
; TotalNumVgprs: 21
; ScratchSize: 0
; MemoryBound: 0
; FloatMode: 240
; IeeeMode: 1
; LDSByteSize: 0 bytes/workgroup (compile time only)
; SGPRBlocks: 3
; VGPRBlocks: 2
; NumSGPRsForWavesPerEU: 32
; NumVGPRsForWavesPerEU: 21
; AccumOffset: 24
; Occupancy: 8
; WaveLimiterHint : 1
; COMPUTE_PGM_RSRC2:SCRATCH_EN: 0
; COMPUTE_PGM_RSRC2:USER_SGPR: 2
; COMPUTE_PGM_RSRC2:TRAP_HANDLER: 0
; COMPUTE_PGM_RSRC2:TGID_X_EN: 1
; COMPUTE_PGM_RSRC2:TGID_Y_EN: 0
; COMPUTE_PGM_RSRC2:TGID_Z_EN: 0
; COMPUTE_PGM_RSRC2:TIDIG_COMP_CNT: 0
; COMPUTE_PGM_RSRC3_GFX90A:ACCUM_OFFSET: 5
; COMPUTE_PGM_RSRC3_GFX90A:TG_SPLIT: 0
	.section	.text._ZN2at6native12_GLOBAL__N_115sum_and_scatterIN3c108BFloat16ElEEvPKT0_PT_lS7_PKlPKNS_14AccumulateTypeIS8_Lb1EE4typeES7_SB_ll,"axG",@progbits,_ZN2at6native12_GLOBAL__N_115sum_and_scatterIN3c108BFloat16ElEEvPKT0_PT_lS7_PKlPKNS_14AccumulateTypeIS8_Lb1EE4typeES7_SB_ll,comdat
	.globl	_ZN2at6native12_GLOBAL__N_115sum_and_scatterIN3c108BFloat16ElEEvPKT0_PT_lS7_PKlPKNS_14AccumulateTypeIS8_Lb1EE4typeES7_SB_ll ; -- Begin function _ZN2at6native12_GLOBAL__N_115sum_and_scatterIN3c108BFloat16ElEEvPKT0_PT_lS7_PKlPKNS_14AccumulateTypeIS8_Lb1EE4typeES7_SB_ll
	.p2align	8
	.type	_ZN2at6native12_GLOBAL__N_115sum_and_scatterIN3c108BFloat16ElEEvPKT0_PT_lS7_PKlPKNS_14AccumulateTypeIS8_Lb1EE4typeES7_SB_ll,@function
_ZN2at6native12_GLOBAL__N_115sum_and_scatterIN3c108BFloat16ElEEvPKT0_PT_lS7_PKlPKNS_14AccumulateTypeIS8_Lb1EE4typeES7_SB_ll: ; @_ZN2at6native12_GLOBAL__N_115sum_and_scatterIN3c108BFloat16ElEEvPKT0_PT_lS7_PKlPKNS_14AccumulateTypeIS8_Lb1EE4typeES7_SB_ll
; %bb.0:
	s_load_dword s3, s[0:1], 0x5c
	s_load_dwordx4 s[20:23], s[0:1], 0x40
	s_load_dwordx16 s[4:19], s[0:1], 0x0
	v_mov_b32_e32 v1, 0
	v_mov_b32_e32 v2, s2
	s_waitcnt lgkmcnt(0)
	s_and_b32 s0, s3, 0xffff
	v_mad_u64_u32 v[2:3], s[0:1], s0, v2, v[0:1]
	v_or_b32_e32 v5, s23, v3
	v_mov_b32_e32 v4, v1
	v_cmp_ne_u64_e32 vcc, 0, v[4:5]
                                        ; implicit-def: $vgpr4_vgpr5
	s_and_saveexec_b64 s[0:1], vcc
	s_xor_b64 s[2:3], exec, s[0:1]
	s_cbranch_execz .LBB115_2
; %bb.1:
	s_ashr_i32 s24, s23, 31
	s_add_u32 s0, s22, s24
	s_mov_b32 s25, s24
	s_addc_u32 s1, s23, s24
	s_xor_b64 s[26:27], s[0:1], s[24:25]
	v_cvt_f32_u32_e32 v0, s26
	v_cvt_f32_u32_e32 v4, s27
	s_sub_u32 s0, 0, s26
	s_subb_u32 s1, 0, s27
	v_fmamk_f32 v0, v4, 0x4f800000, v0
	v_rcp_f32_e32 v0, v0
	s_nop 0
	v_mul_f32_e32 v0, 0x5f7ffffc, v0
	v_mul_f32_e32 v4, 0x2f800000, v0
	v_trunc_f32_e32 v4, v4
	v_fmamk_f32 v0, v4, 0xcf800000, v0
	v_cvt_u32_f32_e32 v6, v4
	v_cvt_u32_f32_e32 v7, v0
	v_mul_lo_u32 v0, s0, v6
	v_mul_hi_u32 v5, s0, v7
	v_mul_lo_u32 v4, s1, v7
	v_add_u32_e32 v0, v5, v0
	v_mul_lo_u32 v8, s0, v7
	v_add_u32_e32 v9, v0, v4
	v_mul_hi_u32 v5, v7, v9
	v_mul_lo_u32 v4, v7, v9
	v_mul_hi_u32 v0, v7, v8
	v_lshl_add_u64 v[4:5], v[0:1], 0, v[4:5]
	v_mul_hi_u32 v0, v6, v8
	v_mul_lo_u32 v8, v6, v8
	v_add_co_u32_e32 v4, vcc, v4, v8
	v_mul_hi_u32 v10, v6, v9
	s_nop 0
	v_addc_co_u32_e32 v0, vcc, v5, v0, vcc
	v_mul_lo_u32 v4, v6, v9
	s_nop 0
	v_addc_co_u32_e32 v5, vcc, 0, v10, vcc
	v_lshl_add_u64 v[4:5], v[0:1], 0, v[4:5]
	v_add_co_u32_e32 v7, vcc, v7, v4
	v_mul_hi_u32 v4, s0, v7
	s_nop 0
	v_addc_co_u32_e32 v6, vcc, v6, v5, vcc
	v_mul_lo_u32 v0, s0, v6
	v_add_u32_e32 v0, v4, v0
	v_mul_lo_u32 v4, s1, v7
	v_add_u32_e32 v8, v0, v4
	v_mul_lo_u32 v0, s0, v7
	v_mul_hi_u32 v10, v6, v0
	v_mul_lo_u32 v11, v6, v0
	v_mul_hi_u32 v5, v7, v8
	;; [unrolled: 2-line block ×3, first 2 shown]
	v_lshl_add_u64 v[4:5], v[0:1], 0, v[4:5]
	v_add_co_u32_e32 v0, vcc, v4, v11
	v_mul_hi_u32 v9, v6, v8
	s_nop 0
	v_addc_co_u32_e32 v0, vcc, v5, v10, vcc
	v_mul_lo_u32 v4, v6, v8
	s_nop 0
	v_addc_co_u32_e32 v5, vcc, 0, v9, vcc
	v_lshl_add_u64 v[4:5], v[0:1], 0, v[4:5]
	v_add_co_u32_e32 v10, vcc, v7, v4
	v_ashrrev_i32_e32 v4, 31, v3
	s_nop 0
	v_addc_co_u32_e32 v8, vcc, v6, v5, vcc
	v_mov_b32_e32 v5, v4
	v_lshl_add_u64 v[6:7], v[2:3], 0, v[4:5]
	v_xor_b32_e32 v12, v6, v4
	v_xor_b32_e32 v5, v7, v4
	v_mad_u64_u32 v[6:7], s[0:1], v12, v8, 0
	v_mul_hi_u32 v0, v12, v10
	v_lshl_add_u64 v[6:7], v[0:1], 0, v[6:7]
	v_mad_u64_u32 v[10:11], s[0:1], v5, v10, 0
	v_add_co_u32_e32 v0, vcc, v6, v10
	v_mad_u64_u32 v[8:9], s[0:1], v5, v8, 0
	s_nop 0
	v_addc_co_u32_e32 v0, vcc, v7, v11, vcc
	s_nop 1
	v_addc_co_u32_e32 v9, vcc, 0, v9, vcc
	v_lshl_add_u64 v[0:1], v[0:1], 0, v[8:9]
	v_mul_lo_u32 v8, s27, v0
	v_mul_lo_u32 v9, s26, v1
	v_mad_u64_u32 v[6:7], s[0:1], s26, v0, 0
	v_add3_u32 v10, v7, v9, v8
	v_sub_u32_e32 v7, v5, v10
	v_mov_b32_e32 v8, s27
	v_sub_co_u32_e32 v11, vcc, v12, v6
	s_nop 1
	v_subb_co_u32_e64 v6, s[0:1], v7, v8, vcc
	v_subrev_co_u32_e64 v7, s[0:1], s26, v11
	v_subb_co_u32_e32 v5, vcc, v5, v10, vcc
	s_nop 0
	v_subbrev_co_u32_e64 v6, s[0:1], 0, v6, s[0:1]
	v_cmp_le_u32_e64 s[0:1], s27, v6
	v_cmp_le_u32_e32 vcc, s27, v5
	s_nop 0
	v_cndmask_b32_e64 v8, 0, -1, s[0:1]
	v_cmp_le_u32_e64 s[0:1], s26, v7
	s_nop 1
	v_cndmask_b32_e64 v7, 0, -1, s[0:1]
	v_cmp_eq_u32_e64 s[0:1], s27, v6
	s_nop 1
	v_cndmask_b32_e64 v12, v8, v7, s[0:1]
	v_lshl_add_u64 v[6:7], v[0:1], 0, 2
	v_lshl_add_u64 v[8:9], v[0:1], 0, 1
	v_cmp_ne_u32_e64 s[0:1], 0, v12
	s_nop 1
	v_cndmask_b32_e64 v7, v9, v7, s[0:1]
	v_cndmask_b32_e64 v9, 0, -1, vcc
	v_cmp_le_u32_e32 vcc, s26, v11
	s_nop 1
	v_cndmask_b32_e64 v10, 0, -1, vcc
	v_cmp_eq_u32_e32 vcc, s27, v5
	s_nop 1
	v_cndmask_b32_e32 v5, v9, v10, vcc
	v_cmp_ne_u32_e32 vcc, 0, v5
	v_cndmask_b32_e64 v5, v8, v6, s[0:1]
	s_nop 0
	v_cndmask_b32_e32 v0, v0, v5, vcc
	v_xor_b32_e32 v5, s24, v4
	v_cndmask_b32_e32 v1, v1, v7, vcc
	v_xor_b32_e32 v0, v0, v5
	v_xor_b32_e32 v1, v1, v5
	v_sub_co_u32_e32 v4, vcc, v0, v5
	s_nop 1
	v_subb_co_u32_e32 v5, vcc, v1, v5, vcc
.LBB115_2:
	s_or_saveexec_b64 s[0:1], s[2:3]
	s_load_dwordx2 s[2:3], s[12:13], 0x0
	s_xor_b64 exec, exec, s[0:1]
	s_cbranch_execz .LBB115_4
; %bb.3:
	v_cvt_f32_u32_e32 v0, s22
	s_sub_i32 s12, 0, s22
	v_rcp_iflag_f32_e32 v0, v0
	s_nop 0
	v_mul_f32_e32 v0, 0x4f7ffffe, v0
	v_cvt_u32_f32_e32 v0, v0
	v_mul_lo_u32 v1, s12, v0
	v_mul_hi_u32 v1, v0, v1
	v_add_u32_e32 v0, v0, v1
	v_mul_hi_u32 v0, v2, v0
	v_mul_lo_u32 v1, v0, s22
	v_sub_u32_e32 v1, v2, v1
	v_add_u32_e32 v4, 1, v0
	v_subrev_u32_e32 v5, s22, v1
	v_cmp_le_u32_e32 vcc, s22, v1
	s_nop 1
	v_cndmask_b32_e32 v1, v1, v5, vcc
	v_cndmask_b32_e32 v0, v0, v4, vcc
	v_add_u32_e32 v4, 1, v0
	v_cmp_le_u32_e32 vcc, s22, v1
	v_mov_b32_e32 v5, 0
	s_nop 0
	v_cndmask_b32_e32 v4, v0, v4, vcc
.LBB115_4:
	s_or_b64 exec, exec, s[0:1]
	v_mul_lo_u32 v0, v5, s22
	v_mul_lo_u32 v1, v4, s23
	v_mad_u64_u32 v[6:7], s[0:1], v4, s22, 0
	v_add3_u32 v7, v7, v1, v0
	v_sub_co_u32_e32 v0, vcc, v2, v6
	s_waitcnt lgkmcnt(0)
	v_cmp_gt_i64_e64 s[0:1], s[2:3], v[4:5]
	v_subb_co_u32_e32 v1, vcc, v3, v7, vcc
	v_cmp_gt_i64_e32 vcc, s[8:9], v[0:1]
	s_and_b64 s[0:1], vcc, s[0:1]
	s_and_saveexec_b64 s[12:13], s[0:1]
	s_cbranch_execz .LBB115_11
; %bb.5:
	v_mov_b32_e32 v8, s16
	v_mov_b32_e32 v9, s17
	s_add_u32 s0, s2, -1
	v_lshl_add_u64 v[10:11], v[4:5], 3, v[8:9]
	s_addc_u32 s1, s3, -1
	global_load_dword v9, v[10:11], off
	v_lshl_add_u64 v[10:11], v[10:11], 0, 8
	v_mov_b32_e32 v8, s19
	v_cmp_eq_u64_e32 vcc, s[0:1], v[4:5]
	s_nop 1
	v_cndmask_b32_e32 v11, v11, v8, vcc
	v_mov_b32_e32 v8, s18
	v_cndmask_b32_e32 v10, v10, v8, vcc
	global_load_dword v10, v[10:11], off
	v_mov_b32_e32 v8, 0
	s_waitcnt vmcnt(0)
	v_cmp_lt_i32_e32 vcc, v9, v10
	s_and_saveexec_b64 s[0:1], vcc
	s_cbranch_execz .LBB115_9
; %bb.6:
	v_ashrrev_i32_e32 v8, 31, v9
	v_mul_lo_u32 v11, s9, v9
	v_mul_lo_u32 v8, s8, v8
	v_mad_u64_u32 v[12:13], s[2:3], s8, v9, 0
	v_add3_u32 v13, v13, v8, v11
	v_lshlrev_b64 v[2:3], 2, v[2:3]
	v_lshl_add_u64 v[2:3], v[12:13], 2, v[2:3]
	v_lshlrev_b64 v[6:7], 2, v[6:7]
	v_sub_co_u32_e32 v2, vcc, v2, v6
	s_lshl_b64 s[12:13], s[8:9], 2
	s_nop 0
	v_subb_co_u32_e32 v3, vcc, v3, v7, vcc
	v_lshl_add_u64 v[2:3], s[14:15], 0, v[2:3]
	s_mov_b64 s[2:3], 0
	v_mov_b32_e32 v8, 0
.LBB115_7:                              ; =>This Inner Loop Header: Depth=1
	global_load_dword v6, v[2:3], off
	v_add_u32_e32 v9, 1, v9
	v_cmp_ge_i32_e32 vcc, v9, v10
	v_lshl_add_u64 v[2:3], v[2:3], 0, s[12:13]
	s_or_b64 s[2:3], vcc, s[2:3]
	s_waitcnt vmcnt(0)
	v_add_f32_e32 v8, v8, v6
	s_andn2_b64 exec, exec, s[2:3]
	s_cbranch_execnz .LBB115_7
; %bb.8:
	s_or_b64 exec, exec, s[2:3]
.LBB115_9:
	s_or_b64 exec, exec, s[0:1]
	v_mov_b32_e32 v2, s10
	v_mov_b32_e32 v3, s11
	v_lshl_add_u64 v[2:3], v[4:5], 3, v[2:3]
	global_load_dwordx2 v[2:3], v[2:3], off
	v_mov_b32_e32 v4, s4
	v_mov_b32_e32 v5, s5
	s_waitcnt vmcnt(0)
	v_lshl_add_u64 v[2:3], v[2:3], 3, v[4:5]
	global_load_dwordx2 v[2:3], v[2:3], off
	s_waitcnt vmcnt(0)
	v_cmp_ne_u64_e32 vcc, s[20:21], v[2:3]
	s_and_b64 exec, exec, vcc
	s_cbranch_execz .LBB115_11
; %bb.10:
	v_bfe_u32 v6, v8, 16, 1
	s_movk_i32 s0, 0x7fff
	v_add3_u32 v6, v8, v6, s0
	v_lshrrev_b32_e32 v6, 16, v6
	v_mov_b32_e32 v7, 0x7fc0
	v_cmp_o_f32_e32 vcc, v8, v8
	v_mul_lo_u32 v8, v2, s9
	v_mov_b32_e32 v4, s6
	v_cndmask_b32_e32 v6, v7, v6, vcc
	v_mul_lo_u32 v7, v3, s8
	v_mad_u64_u32 v[2:3], s[0:1], v2, s8, 0
	v_mov_b32_e32 v5, s7
	v_add3_u32 v3, v3, v8, v7
	v_lshl_add_u64 v[2:3], v[2:3], 1, v[4:5]
	v_lshl_add_u64 v[0:1], v[0:1], 1, v[2:3]
	global_store_short v[0:1], v6, off
.LBB115_11:
	s_endpgm
	.section	.rodata,"a",@progbits
	.p2align	6, 0x0
	.amdhsa_kernel _ZN2at6native12_GLOBAL__N_115sum_and_scatterIN3c108BFloat16ElEEvPKT0_PT_lS7_PKlPKNS_14AccumulateTypeIS8_Lb1EE4typeES7_SB_ll
		.amdhsa_group_segment_fixed_size 0
		.amdhsa_private_segment_fixed_size 0
		.amdhsa_kernarg_size 336
		.amdhsa_user_sgpr_count 2
		.amdhsa_user_sgpr_dispatch_ptr 0
		.amdhsa_user_sgpr_queue_ptr 0
		.amdhsa_user_sgpr_kernarg_segment_ptr 1
		.amdhsa_user_sgpr_dispatch_id 0
		.amdhsa_user_sgpr_kernarg_preload_length 0
		.amdhsa_user_sgpr_kernarg_preload_offset 0
		.amdhsa_user_sgpr_private_segment_size 0
		.amdhsa_uses_dynamic_stack 0
		.amdhsa_enable_private_segment 0
		.amdhsa_system_sgpr_workgroup_id_x 1
		.amdhsa_system_sgpr_workgroup_id_y 0
		.amdhsa_system_sgpr_workgroup_id_z 0
		.amdhsa_system_sgpr_workgroup_info 0
		.amdhsa_system_vgpr_workitem_id 0
		.amdhsa_next_free_vgpr 14
		.amdhsa_next_free_sgpr 28
		.amdhsa_accum_offset 16
		.amdhsa_reserve_vcc 1
		.amdhsa_float_round_mode_32 0
		.amdhsa_float_round_mode_16_64 0
		.amdhsa_float_denorm_mode_32 3
		.amdhsa_float_denorm_mode_16_64 3
		.amdhsa_dx10_clamp 1
		.amdhsa_ieee_mode 1
		.amdhsa_fp16_overflow 0
		.amdhsa_tg_split 0
		.amdhsa_exception_fp_ieee_invalid_op 0
		.amdhsa_exception_fp_denorm_src 0
		.amdhsa_exception_fp_ieee_div_zero 0
		.amdhsa_exception_fp_ieee_overflow 0
		.amdhsa_exception_fp_ieee_underflow 0
		.amdhsa_exception_fp_ieee_inexact 0
		.amdhsa_exception_int_div_zero 0
	.end_amdhsa_kernel
	.section	.text._ZN2at6native12_GLOBAL__N_115sum_and_scatterIN3c108BFloat16ElEEvPKT0_PT_lS7_PKlPKNS_14AccumulateTypeIS8_Lb1EE4typeES7_SB_ll,"axG",@progbits,_ZN2at6native12_GLOBAL__N_115sum_and_scatterIN3c108BFloat16ElEEvPKT0_PT_lS7_PKlPKNS_14AccumulateTypeIS8_Lb1EE4typeES7_SB_ll,comdat
.Lfunc_end115:
	.size	_ZN2at6native12_GLOBAL__N_115sum_and_scatterIN3c108BFloat16ElEEvPKT0_PT_lS7_PKlPKNS_14AccumulateTypeIS8_Lb1EE4typeES7_SB_ll, .Lfunc_end115-_ZN2at6native12_GLOBAL__N_115sum_and_scatterIN3c108BFloat16ElEEvPKT0_PT_lS7_PKlPKNS_14AccumulateTypeIS8_Lb1EE4typeES7_SB_ll
                                        ; -- End function
	.section	.AMDGPU.csdata,"",@progbits
; Kernel info:
; codeLenInByte = 1424
; NumSgprs: 34
; NumVgprs: 14
; NumAgprs: 0
; TotalNumVgprs: 14
; ScratchSize: 0
; MemoryBound: 0
; FloatMode: 240
; IeeeMode: 1
; LDSByteSize: 0 bytes/workgroup (compile time only)
; SGPRBlocks: 4
; VGPRBlocks: 1
; NumSGPRsForWavesPerEU: 34
; NumVGPRsForWavesPerEU: 14
; AccumOffset: 16
; Occupancy: 8
; WaveLimiterHint : 1
; COMPUTE_PGM_RSRC2:SCRATCH_EN: 0
; COMPUTE_PGM_RSRC2:USER_SGPR: 2
; COMPUTE_PGM_RSRC2:TRAP_HANDLER: 0
; COMPUTE_PGM_RSRC2:TGID_X_EN: 1
; COMPUTE_PGM_RSRC2:TGID_Y_EN: 0
; COMPUTE_PGM_RSRC2:TGID_Z_EN: 0
; COMPUTE_PGM_RSRC2:TIDIG_COMP_CNT: 0
; COMPUTE_PGM_RSRC3_GFX90A:ACCUM_OFFSET: 3
; COMPUTE_PGM_RSRC3_GFX90A:TG_SPLIT: 0
	.text
	.p2alignl 6, 3212836864
	.fill 256, 4, 3212836864
	.type	__hip_cuid_23ee03ec372d6490,@object ; @__hip_cuid_23ee03ec372d6490
	.section	.bss,"aw",@nobits
	.globl	__hip_cuid_23ee03ec372d6490
__hip_cuid_23ee03ec372d6490:
	.byte	0                               ; 0x0
	.size	__hip_cuid_23ee03ec372d6490, 1

	.ident	"AMD clang version 19.0.0git (https://github.com/RadeonOpenCompute/llvm-project roc-6.4.0 25133 c7fe45cf4b819c5991fe208aaa96edf142730f1d)"
	.section	".note.GNU-stack","",@progbits
	.addrsig
	.addrsig_sym __hip_cuid_23ee03ec372d6490
	.amdgpu_metadata
---
amdhsa.kernels:
  - .agpr_count:     0
    .args:
      - .address_space:  global
        .offset:         0
        .size:           8
        .value_kind:     global_buffer
      - .offset:         8
        .size:           4
        .value_kind:     by_value
      - .offset:         12
        .size:           1
        .value_kind:     by_value
      - .offset:         16
        .size:           4
        .value_kind:     by_value
      - .address_space:  global
        .offset:         24
        .size:           8
        .value_kind:     global_buffer
      - .offset:         32
        .size:           4
        .value_kind:     hidden_block_count_x
      - .offset:         36
        .size:           4
        .value_kind:     hidden_block_count_y
      - .offset:         40
        .size:           4
        .value_kind:     hidden_block_count_z
      - .offset:         44
        .size:           2
        .value_kind:     hidden_group_size_x
      - .offset:         46
        .size:           2
        .value_kind:     hidden_group_size_y
      - .offset:         48
        .size:           2
        .value_kind:     hidden_group_size_z
      - .offset:         50
        .size:           2
        .value_kind:     hidden_remainder_x
      - .offset:         52
        .size:           2
        .value_kind:     hidden_remainder_y
      - .offset:         54
        .size:           2
        .value_kind:     hidden_remainder_z
      - .offset:         72
        .size:           8
        .value_kind:     hidden_global_offset_x
      - .offset:         80
        .size:           8
        .value_kind:     hidden_global_offset_y
      - .offset:         88
        .size:           8
        .value_kind:     hidden_global_offset_z
      - .offset:         96
        .size:           2
        .value_kind:     hidden_grid_dims
    .group_segment_fixed_size: 0
    .kernarg_segment_align: 8
    .kernarg_segment_size: 288
    .language:       OpenCL C
    .language_version:
      - 2
      - 0
    .max_flat_workgroup_size: 256
    .name:           _ZN7rocprim17ROCPRIM_400000_NS6detail31init_lookback_scan_state_kernelINS1_19lookback_scan_stateIjLb0ELb1EEENS1_16block_id_wrapperIjLb0EEEEEvT_jT0_jPNS7_10value_typeE
    .private_segment_fixed_size: 0
    .sgpr_count:     15
    .sgpr_spill_count: 0
    .symbol:         _ZN7rocprim17ROCPRIM_400000_NS6detail31init_lookback_scan_state_kernelINS1_19lookback_scan_stateIjLb0ELb1EEENS1_16block_id_wrapperIjLb0EEEEEvT_jT0_jPNS7_10value_typeE.kd
    .uniform_work_group_size: 1
    .uses_dynamic_stack: false
    .vgpr_count:     6
    .vgpr_spill_count: 0
    .wavefront_size: 64
  - .agpr_count:     0
    .args:
      - .offset:         0
        .size:           112
        .value_kind:     by_value
    .group_segment_fixed_size: 0
    .kernarg_segment_align: 8
    .kernarg_segment_size: 112
    .language:       OpenCL C
    .language_version:
      - 2
      - 0
    .max_flat_workgroup_size: 256
    .name:           _ZN7rocprim17ROCPRIM_400000_NS6detail17trampoline_kernelINS0_14default_configENS1_25partition_config_selectorILNS1_17partition_subalgoE9EiibEEZZNS1_14partition_implILS5_9ELb0ES3_jPKiN6thrust23THRUST_200600_302600_NS17counting_iteratorIiNSB_11use_defaultESD_SD_EEPNS0_10empty_typeENS0_5tupleIJPiSF_EEENSH_IJSI_SG_EEENS0_18inequality_wrapperIN6hipcub16HIPCUB_304000_NS8EqualityEEEPlJSF_EEE10hipError_tPvRmT3_T4_T5_T6_T7_T9_mT8_P12ihipStream_tbDpT10_ENKUlT_T0_E_clISt17integral_constantIbLb0EES1A_EEDaS15_S16_EUlS15_E_NS1_11comp_targetILNS1_3genE0ELNS1_11target_archE4294967295ELNS1_3gpuE0ELNS1_3repE0EEENS1_30default_config_static_selectorELNS0_4arch9wavefront6targetE1EEEvT1_
    .private_segment_fixed_size: 0
    .sgpr_count:     6
    .sgpr_spill_count: 0
    .symbol:         _ZN7rocprim17ROCPRIM_400000_NS6detail17trampoline_kernelINS0_14default_configENS1_25partition_config_selectorILNS1_17partition_subalgoE9EiibEEZZNS1_14partition_implILS5_9ELb0ES3_jPKiN6thrust23THRUST_200600_302600_NS17counting_iteratorIiNSB_11use_defaultESD_SD_EEPNS0_10empty_typeENS0_5tupleIJPiSF_EEENSH_IJSI_SG_EEENS0_18inequality_wrapperIN6hipcub16HIPCUB_304000_NS8EqualityEEEPlJSF_EEE10hipError_tPvRmT3_T4_T5_T6_T7_T9_mT8_P12ihipStream_tbDpT10_ENKUlT_T0_E_clISt17integral_constantIbLb0EES1A_EEDaS15_S16_EUlS15_E_NS1_11comp_targetILNS1_3genE0ELNS1_11target_archE4294967295ELNS1_3gpuE0ELNS1_3repE0EEENS1_30default_config_static_selectorELNS0_4arch9wavefront6targetE1EEEvT1_.kd
    .uniform_work_group_size: 1
    .uses_dynamic_stack: false
    .vgpr_count:     0
    .vgpr_spill_count: 0
    .wavefront_size: 64
  - .agpr_count:     0
    .args:
      - .offset:         0
        .size:           112
        .value_kind:     by_value
    .group_segment_fixed_size: 30728
    .kernarg_segment_align: 8
    .kernarg_segment_size: 112
    .language:       OpenCL C
    .language_version:
      - 2
      - 0
    .max_flat_workgroup_size: 512
    .name:           _ZN7rocprim17ROCPRIM_400000_NS6detail17trampoline_kernelINS0_14default_configENS1_25partition_config_selectorILNS1_17partition_subalgoE9EiibEEZZNS1_14partition_implILS5_9ELb0ES3_jPKiN6thrust23THRUST_200600_302600_NS17counting_iteratorIiNSB_11use_defaultESD_SD_EEPNS0_10empty_typeENS0_5tupleIJPiSF_EEENSH_IJSI_SG_EEENS0_18inequality_wrapperIN6hipcub16HIPCUB_304000_NS8EqualityEEEPlJSF_EEE10hipError_tPvRmT3_T4_T5_T6_T7_T9_mT8_P12ihipStream_tbDpT10_ENKUlT_T0_E_clISt17integral_constantIbLb0EES1A_EEDaS15_S16_EUlS15_E_NS1_11comp_targetILNS1_3genE5ELNS1_11target_archE942ELNS1_3gpuE9ELNS1_3repE0EEENS1_30default_config_static_selectorELNS0_4arch9wavefront6targetE1EEEvT1_
    .private_segment_fixed_size: 0
    .sgpr_count:     54
    .sgpr_spill_count: 0
    .symbol:         _ZN7rocprim17ROCPRIM_400000_NS6detail17trampoline_kernelINS0_14default_configENS1_25partition_config_selectorILNS1_17partition_subalgoE9EiibEEZZNS1_14partition_implILS5_9ELb0ES3_jPKiN6thrust23THRUST_200600_302600_NS17counting_iteratorIiNSB_11use_defaultESD_SD_EEPNS0_10empty_typeENS0_5tupleIJPiSF_EEENSH_IJSI_SG_EEENS0_18inequality_wrapperIN6hipcub16HIPCUB_304000_NS8EqualityEEEPlJSF_EEE10hipError_tPvRmT3_T4_T5_T6_T7_T9_mT8_P12ihipStream_tbDpT10_ENKUlT_T0_E_clISt17integral_constantIbLb0EES1A_EEDaS15_S16_EUlS15_E_NS1_11comp_targetILNS1_3genE5ELNS1_11target_archE942ELNS1_3gpuE9ELNS1_3repE0EEENS1_30default_config_static_selectorELNS0_4arch9wavefront6targetE1EEEvT1_.kd
    .uniform_work_group_size: 1
    .uses_dynamic_stack: false
    .vgpr_count:     100
    .vgpr_spill_count: 0
    .wavefront_size: 64
  - .agpr_count:     0
    .args:
      - .offset:         0
        .size:           112
        .value_kind:     by_value
    .group_segment_fixed_size: 0
    .kernarg_segment_align: 8
    .kernarg_segment_size: 112
    .language:       OpenCL C
    .language_version:
      - 2
      - 0
    .max_flat_workgroup_size: 192
    .name:           _ZN7rocprim17ROCPRIM_400000_NS6detail17trampoline_kernelINS0_14default_configENS1_25partition_config_selectorILNS1_17partition_subalgoE9EiibEEZZNS1_14partition_implILS5_9ELb0ES3_jPKiN6thrust23THRUST_200600_302600_NS17counting_iteratorIiNSB_11use_defaultESD_SD_EEPNS0_10empty_typeENS0_5tupleIJPiSF_EEENSH_IJSI_SG_EEENS0_18inequality_wrapperIN6hipcub16HIPCUB_304000_NS8EqualityEEEPlJSF_EEE10hipError_tPvRmT3_T4_T5_T6_T7_T9_mT8_P12ihipStream_tbDpT10_ENKUlT_T0_E_clISt17integral_constantIbLb0EES1A_EEDaS15_S16_EUlS15_E_NS1_11comp_targetILNS1_3genE4ELNS1_11target_archE910ELNS1_3gpuE8ELNS1_3repE0EEENS1_30default_config_static_selectorELNS0_4arch9wavefront6targetE1EEEvT1_
    .private_segment_fixed_size: 0
    .sgpr_count:     6
    .sgpr_spill_count: 0
    .symbol:         _ZN7rocprim17ROCPRIM_400000_NS6detail17trampoline_kernelINS0_14default_configENS1_25partition_config_selectorILNS1_17partition_subalgoE9EiibEEZZNS1_14partition_implILS5_9ELb0ES3_jPKiN6thrust23THRUST_200600_302600_NS17counting_iteratorIiNSB_11use_defaultESD_SD_EEPNS0_10empty_typeENS0_5tupleIJPiSF_EEENSH_IJSI_SG_EEENS0_18inequality_wrapperIN6hipcub16HIPCUB_304000_NS8EqualityEEEPlJSF_EEE10hipError_tPvRmT3_T4_T5_T6_T7_T9_mT8_P12ihipStream_tbDpT10_ENKUlT_T0_E_clISt17integral_constantIbLb0EES1A_EEDaS15_S16_EUlS15_E_NS1_11comp_targetILNS1_3genE4ELNS1_11target_archE910ELNS1_3gpuE8ELNS1_3repE0EEENS1_30default_config_static_selectorELNS0_4arch9wavefront6targetE1EEEvT1_.kd
    .uniform_work_group_size: 1
    .uses_dynamic_stack: false
    .vgpr_count:     0
    .vgpr_spill_count: 0
    .wavefront_size: 64
  - .agpr_count:     0
    .args:
      - .offset:         0
        .size:           112
        .value_kind:     by_value
    .group_segment_fixed_size: 0
    .kernarg_segment_align: 8
    .kernarg_segment_size: 112
    .language:       OpenCL C
    .language_version:
      - 2
      - 0
    .max_flat_workgroup_size: 256
    .name:           _ZN7rocprim17ROCPRIM_400000_NS6detail17trampoline_kernelINS0_14default_configENS1_25partition_config_selectorILNS1_17partition_subalgoE9EiibEEZZNS1_14partition_implILS5_9ELb0ES3_jPKiN6thrust23THRUST_200600_302600_NS17counting_iteratorIiNSB_11use_defaultESD_SD_EEPNS0_10empty_typeENS0_5tupleIJPiSF_EEENSH_IJSI_SG_EEENS0_18inequality_wrapperIN6hipcub16HIPCUB_304000_NS8EqualityEEEPlJSF_EEE10hipError_tPvRmT3_T4_T5_T6_T7_T9_mT8_P12ihipStream_tbDpT10_ENKUlT_T0_E_clISt17integral_constantIbLb0EES1A_EEDaS15_S16_EUlS15_E_NS1_11comp_targetILNS1_3genE3ELNS1_11target_archE908ELNS1_3gpuE7ELNS1_3repE0EEENS1_30default_config_static_selectorELNS0_4arch9wavefront6targetE1EEEvT1_
    .private_segment_fixed_size: 0
    .sgpr_count:     6
    .sgpr_spill_count: 0
    .symbol:         _ZN7rocprim17ROCPRIM_400000_NS6detail17trampoline_kernelINS0_14default_configENS1_25partition_config_selectorILNS1_17partition_subalgoE9EiibEEZZNS1_14partition_implILS5_9ELb0ES3_jPKiN6thrust23THRUST_200600_302600_NS17counting_iteratorIiNSB_11use_defaultESD_SD_EEPNS0_10empty_typeENS0_5tupleIJPiSF_EEENSH_IJSI_SG_EEENS0_18inequality_wrapperIN6hipcub16HIPCUB_304000_NS8EqualityEEEPlJSF_EEE10hipError_tPvRmT3_T4_T5_T6_T7_T9_mT8_P12ihipStream_tbDpT10_ENKUlT_T0_E_clISt17integral_constantIbLb0EES1A_EEDaS15_S16_EUlS15_E_NS1_11comp_targetILNS1_3genE3ELNS1_11target_archE908ELNS1_3gpuE7ELNS1_3repE0EEENS1_30default_config_static_selectorELNS0_4arch9wavefront6targetE1EEEvT1_.kd
    .uniform_work_group_size: 1
    .uses_dynamic_stack: false
    .vgpr_count:     0
    .vgpr_spill_count: 0
    .wavefront_size: 64
  - .agpr_count:     0
    .args:
      - .offset:         0
        .size:           112
        .value_kind:     by_value
    .group_segment_fixed_size: 0
    .kernarg_segment_align: 8
    .kernarg_segment_size: 112
    .language:       OpenCL C
    .language_version:
      - 2
      - 0
    .max_flat_workgroup_size: 256
    .name:           _ZN7rocprim17ROCPRIM_400000_NS6detail17trampoline_kernelINS0_14default_configENS1_25partition_config_selectorILNS1_17partition_subalgoE9EiibEEZZNS1_14partition_implILS5_9ELb0ES3_jPKiN6thrust23THRUST_200600_302600_NS17counting_iteratorIiNSB_11use_defaultESD_SD_EEPNS0_10empty_typeENS0_5tupleIJPiSF_EEENSH_IJSI_SG_EEENS0_18inequality_wrapperIN6hipcub16HIPCUB_304000_NS8EqualityEEEPlJSF_EEE10hipError_tPvRmT3_T4_T5_T6_T7_T9_mT8_P12ihipStream_tbDpT10_ENKUlT_T0_E_clISt17integral_constantIbLb0EES1A_EEDaS15_S16_EUlS15_E_NS1_11comp_targetILNS1_3genE2ELNS1_11target_archE906ELNS1_3gpuE6ELNS1_3repE0EEENS1_30default_config_static_selectorELNS0_4arch9wavefront6targetE1EEEvT1_
    .private_segment_fixed_size: 0
    .sgpr_count:     6
    .sgpr_spill_count: 0
    .symbol:         _ZN7rocprim17ROCPRIM_400000_NS6detail17trampoline_kernelINS0_14default_configENS1_25partition_config_selectorILNS1_17partition_subalgoE9EiibEEZZNS1_14partition_implILS5_9ELb0ES3_jPKiN6thrust23THRUST_200600_302600_NS17counting_iteratorIiNSB_11use_defaultESD_SD_EEPNS0_10empty_typeENS0_5tupleIJPiSF_EEENSH_IJSI_SG_EEENS0_18inequality_wrapperIN6hipcub16HIPCUB_304000_NS8EqualityEEEPlJSF_EEE10hipError_tPvRmT3_T4_T5_T6_T7_T9_mT8_P12ihipStream_tbDpT10_ENKUlT_T0_E_clISt17integral_constantIbLb0EES1A_EEDaS15_S16_EUlS15_E_NS1_11comp_targetILNS1_3genE2ELNS1_11target_archE906ELNS1_3gpuE6ELNS1_3repE0EEENS1_30default_config_static_selectorELNS0_4arch9wavefront6targetE1EEEvT1_.kd
    .uniform_work_group_size: 1
    .uses_dynamic_stack: false
    .vgpr_count:     0
    .vgpr_spill_count: 0
    .wavefront_size: 64
  - .agpr_count:     0
    .args:
      - .offset:         0
        .size:           112
        .value_kind:     by_value
    .group_segment_fixed_size: 0
    .kernarg_segment_align: 8
    .kernarg_segment_size: 112
    .language:       OpenCL C
    .language_version:
      - 2
      - 0
    .max_flat_workgroup_size: 384
    .name:           _ZN7rocprim17ROCPRIM_400000_NS6detail17trampoline_kernelINS0_14default_configENS1_25partition_config_selectorILNS1_17partition_subalgoE9EiibEEZZNS1_14partition_implILS5_9ELb0ES3_jPKiN6thrust23THRUST_200600_302600_NS17counting_iteratorIiNSB_11use_defaultESD_SD_EEPNS0_10empty_typeENS0_5tupleIJPiSF_EEENSH_IJSI_SG_EEENS0_18inequality_wrapperIN6hipcub16HIPCUB_304000_NS8EqualityEEEPlJSF_EEE10hipError_tPvRmT3_T4_T5_T6_T7_T9_mT8_P12ihipStream_tbDpT10_ENKUlT_T0_E_clISt17integral_constantIbLb0EES1A_EEDaS15_S16_EUlS15_E_NS1_11comp_targetILNS1_3genE10ELNS1_11target_archE1200ELNS1_3gpuE4ELNS1_3repE0EEENS1_30default_config_static_selectorELNS0_4arch9wavefront6targetE1EEEvT1_
    .private_segment_fixed_size: 0
    .sgpr_count:     6
    .sgpr_spill_count: 0
    .symbol:         _ZN7rocprim17ROCPRIM_400000_NS6detail17trampoline_kernelINS0_14default_configENS1_25partition_config_selectorILNS1_17partition_subalgoE9EiibEEZZNS1_14partition_implILS5_9ELb0ES3_jPKiN6thrust23THRUST_200600_302600_NS17counting_iteratorIiNSB_11use_defaultESD_SD_EEPNS0_10empty_typeENS0_5tupleIJPiSF_EEENSH_IJSI_SG_EEENS0_18inequality_wrapperIN6hipcub16HIPCUB_304000_NS8EqualityEEEPlJSF_EEE10hipError_tPvRmT3_T4_T5_T6_T7_T9_mT8_P12ihipStream_tbDpT10_ENKUlT_T0_E_clISt17integral_constantIbLb0EES1A_EEDaS15_S16_EUlS15_E_NS1_11comp_targetILNS1_3genE10ELNS1_11target_archE1200ELNS1_3gpuE4ELNS1_3repE0EEENS1_30default_config_static_selectorELNS0_4arch9wavefront6targetE1EEEvT1_.kd
    .uniform_work_group_size: 1
    .uses_dynamic_stack: false
    .vgpr_count:     0
    .vgpr_spill_count: 0
    .wavefront_size: 64
  - .agpr_count:     0
    .args:
      - .offset:         0
        .size:           112
        .value_kind:     by_value
    .group_segment_fixed_size: 0
    .kernarg_segment_align: 8
    .kernarg_segment_size: 112
    .language:       OpenCL C
    .language_version:
      - 2
      - 0
    .max_flat_workgroup_size: 384
    .name:           _ZN7rocprim17ROCPRIM_400000_NS6detail17trampoline_kernelINS0_14default_configENS1_25partition_config_selectorILNS1_17partition_subalgoE9EiibEEZZNS1_14partition_implILS5_9ELb0ES3_jPKiN6thrust23THRUST_200600_302600_NS17counting_iteratorIiNSB_11use_defaultESD_SD_EEPNS0_10empty_typeENS0_5tupleIJPiSF_EEENSH_IJSI_SG_EEENS0_18inequality_wrapperIN6hipcub16HIPCUB_304000_NS8EqualityEEEPlJSF_EEE10hipError_tPvRmT3_T4_T5_T6_T7_T9_mT8_P12ihipStream_tbDpT10_ENKUlT_T0_E_clISt17integral_constantIbLb0EES1A_EEDaS15_S16_EUlS15_E_NS1_11comp_targetILNS1_3genE9ELNS1_11target_archE1100ELNS1_3gpuE3ELNS1_3repE0EEENS1_30default_config_static_selectorELNS0_4arch9wavefront6targetE1EEEvT1_
    .private_segment_fixed_size: 0
    .sgpr_count:     6
    .sgpr_spill_count: 0
    .symbol:         _ZN7rocprim17ROCPRIM_400000_NS6detail17trampoline_kernelINS0_14default_configENS1_25partition_config_selectorILNS1_17partition_subalgoE9EiibEEZZNS1_14partition_implILS5_9ELb0ES3_jPKiN6thrust23THRUST_200600_302600_NS17counting_iteratorIiNSB_11use_defaultESD_SD_EEPNS0_10empty_typeENS0_5tupleIJPiSF_EEENSH_IJSI_SG_EEENS0_18inequality_wrapperIN6hipcub16HIPCUB_304000_NS8EqualityEEEPlJSF_EEE10hipError_tPvRmT3_T4_T5_T6_T7_T9_mT8_P12ihipStream_tbDpT10_ENKUlT_T0_E_clISt17integral_constantIbLb0EES1A_EEDaS15_S16_EUlS15_E_NS1_11comp_targetILNS1_3genE9ELNS1_11target_archE1100ELNS1_3gpuE3ELNS1_3repE0EEENS1_30default_config_static_selectorELNS0_4arch9wavefront6targetE1EEEvT1_.kd
    .uniform_work_group_size: 1
    .uses_dynamic_stack: false
    .vgpr_count:     0
    .vgpr_spill_count: 0
    .wavefront_size: 64
  - .agpr_count:     0
    .args:
      - .offset:         0
        .size:           112
        .value_kind:     by_value
    .group_segment_fixed_size: 0
    .kernarg_segment_align: 8
    .kernarg_segment_size: 112
    .language:       OpenCL C
    .language_version:
      - 2
      - 0
    .max_flat_workgroup_size: 512
    .name:           _ZN7rocprim17ROCPRIM_400000_NS6detail17trampoline_kernelINS0_14default_configENS1_25partition_config_selectorILNS1_17partition_subalgoE9EiibEEZZNS1_14partition_implILS5_9ELb0ES3_jPKiN6thrust23THRUST_200600_302600_NS17counting_iteratorIiNSB_11use_defaultESD_SD_EEPNS0_10empty_typeENS0_5tupleIJPiSF_EEENSH_IJSI_SG_EEENS0_18inequality_wrapperIN6hipcub16HIPCUB_304000_NS8EqualityEEEPlJSF_EEE10hipError_tPvRmT3_T4_T5_T6_T7_T9_mT8_P12ihipStream_tbDpT10_ENKUlT_T0_E_clISt17integral_constantIbLb0EES1A_EEDaS15_S16_EUlS15_E_NS1_11comp_targetILNS1_3genE8ELNS1_11target_archE1030ELNS1_3gpuE2ELNS1_3repE0EEENS1_30default_config_static_selectorELNS0_4arch9wavefront6targetE1EEEvT1_
    .private_segment_fixed_size: 0
    .sgpr_count:     6
    .sgpr_spill_count: 0
    .symbol:         _ZN7rocprim17ROCPRIM_400000_NS6detail17trampoline_kernelINS0_14default_configENS1_25partition_config_selectorILNS1_17partition_subalgoE9EiibEEZZNS1_14partition_implILS5_9ELb0ES3_jPKiN6thrust23THRUST_200600_302600_NS17counting_iteratorIiNSB_11use_defaultESD_SD_EEPNS0_10empty_typeENS0_5tupleIJPiSF_EEENSH_IJSI_SG_EEENS0_18inequality_wrapperIN6hipcub16HIPCUB_304000_NS8EqualityEEEPlJSF_EEE10hipError_tPvRmT3_T4_T5_T6_T7_T9_mT8_P12ihipStream_tbDpT10_ENKUlT_T0_E_clISt17integral_constantIbLb0EES1A_EEDaS15_S16_EUlS15_E_NS1_11comp_targetILNS1_3genE8ELNS1_11target_archE1030ELNS1_3gpuE2ELNS1_3repE0EEENS1_30default_config_static_selectorELNS0_4arch9wavefront6targetE1EEEvT1_.kd
    .uniform_work_group_size: 1
    .uses_dynamic_stack: false
    .vgpr_count:     0
    .vgpr_spill_count: 0
    .wavefront_size: 64
  - .agpr_count:     0
    .args:
      - .offset:         0
        .size:           40
        .value_kind:     by_value
    .group_segment_fixed_size: 0
    .kernarg_segment_align: 8
    .kernarg_segment_size: 40
    .language:       OpenCL C
    .language_version:
      - 2
      - 0
    .max_flat_workgroup_size: 128
    .name:           _ZN7rocprim17ROCPRIM_400000_NS6detail17trampoline_kernelINS0_14default_configENS1_25transform_config_selectorImLb1EEEZNS1_14transform_implILb1ES3_S5_PmPlNS0_8identityIvEEEE10hipError_tT2_T3_mT4_P12ihipStream_tbEUlT_E_NS1_11comp_targetILNS1_3genE0ELNS1_11target_archE4294967295ELNS1_3gpuE0ELNS1_3repE0EEENS1_30default_config_static_selectorELNS0_4arch9wavefront6targetE1EEEvT1_
    .private_segment_fixed_size: 0
    .sgpr_count:     6
    .sgpr_spill_count: 0
    .symbol:         _ZN7rocprim17ROCPRIM_400000_NS6detail17trampoline_kernelINS0_14default_configENS1_25transform_config_selectorImLb1EEEZNS1_14transform_implILb1ES3_S5_PmPlNS0_8identityIvEEEE10hipError_tT2_T3_mT4_P12ihipStream_tbEUlT_E_NS1_11comp_targetILNS1_3genE0ELNS1_11target_archE4294967295ELNS1_3gpuE0ELNS1_3repE0EEENS1_30default_config_static_selectorELNS0_4arch9wavefront6targetE1EEEvT1_.kd
    .uniform_work_group_size: 1
    .uses_dynamic_stack: false
    .vgpr_count:     0
    .vgpr_spill_count: 0
    .wavefront_size: 64
  - .agpr_count:     0
    .args:
      - .offset:         0
        .size:           40
        .value_kind:     by_value
    .group_segment_fixed_size: 0
    .kernarg_segment_align: 8
    .kernarg_segment_size: 40
    .language:       OpenCL C
    .language_version:
      - 2
      - 0
    .max_flat_workgroup_size: 1024
    .name:           _ZN7rocprim17ROCPRIM_400000_NS6detail17trampoline_kernelINS0_14default_configENS1_25transform_config_selectorImLb1EEEZNS1_14transform_implILb1ES3_S5_PmPlNS0_8identityIvEEEE10hipError_tT2_T3_mT4_P12ihipStream_tbEUlT_E_NS1_11comp_targetILNS1_3genE10ELNS1_11target_archE1201ELNS1_3gpuE5ELNS1_3repE0EEENS1_30default_config_static_selectorELNS0_4arch9wavefront6targetE1EEEvT1_
    .private_segment_fixed_size: 0
    .sgpr_count:     6
    .sgpr_spill_count: 0
    .symbol:         _ZN7rocprim17ROCPRIM_400000_NS6detail17trampoline_kernelINS0_14default_configENS1_25transform_config_selectorImLb1EEEZNS1_14transform_implILb1ES3_S5_PmPlNS0_8identityIvEEEE10hipError_tT2_T3_mT4_P12ihipStream_tbEUlT_E_NS1_11comp_targetILNS1_3genE10ELNS1_11target_archE1201ELNS1_3gpuE5ELNS1_3repE0EEENS1_30default_config_static_selectorELNS0_4arch9wavefront6targetE1EEEvT1_.kd
    .uniform_work_group_size: 1
    .uses_dynamic_stack: false
    .vgpr_count:     0
    .vgpr_spill_count: 0
    .wavefront_size: 64
  - .agpr_count:     0
    .args:
      - .offset:         0
        .size:           40
        .value_kind:     by_value
      - .offset:         40
        .size:           4
        .value_kind:     hidden_block_count_x
      - .offset:         44
        .size:           4
        .value_kind:     hidden_block_count_y
      - .offset:         48
        .size:           4
        .value_kind:     hidden_block_count_z
      - .offset:         52
        .size:           2
        .value_kind:     hidden_group_size_x
      - .offset:         54
        .size:           2
        .value_kind:     hidden_group_size_y
      - .offset:         56
        .size:           2
        .value_kind:     hidden_group_size_z
      - .offset:         58
        .size:           2
        .value_kind:     hidden_remainder_x
      - .offset:         60
        .size:           2
        .value_kind:     hidden_remainder_y
      - .offset:         62
        .size:           2
        .value_kind:     hidden_remainder_z
      - .offset:         80
        .size:           8
        .value_kind:     hidden_global_offset_x
      - .offset:         88
        .size:           8
        .value_kind:     hidden_global_offset_y
      - .offset:         96
        .size:           8
        .value_kind:     hidden_global_offset_z
      - .offset:         104
        .size:           2
        .value_kind:     hidden_grid_dims
    .group_segment_fixed_size: 0
    .kernarg_segment_align: 8
    .kernarg_segment_size: 296
    .language:       OpenCL C
    .language_version:
      - 2
      - 0
    .max_flat_workgroup_size: 512
    .name:           _ZN7rocprim17ROCPRIM_400000_NS6detail17trampoline_kernelINS0_14default_configENS1_25transform_config_selectorImLb1EEEZNS1_14transform_implILb1ES3_S5_PmPlNS0_8identityIvEEEE10hipError_tT2_T3_mT4_P12ihipStream_tbEUlT_E_NS1_11comp_targetILNS1_3genE5ELNS1_11target_archE942ELNS1_3gpuE9ELNS1_3repE0EEENS1_30default_config_static_selectorELNS0_4arch9wavefront6targetE1EEEvT1_
    .private_segment_fixed_size: 0
    .sgpr_count:     18
    .sgpr_spill_count: 0
    .symbol:         _ZN7rocprim17ROCPRIM_400000_NS6detail17trampoline_kernelINS0_14default_configENS1_25transform_config_selectorImLb1EEEZNS1_14transform_implILb1ES3_S5_PmPlNS0_8identityIvEEEE10hipError_tT2_T3_mT4_P12ihipStream_tbEUlT_E_NS1_11comp_targetILNS1_3genE5ELNS1_11target_archE942ELNS1_3gpuE9ELNS1_3repE0EEENS1_30default_config_static_selectorELNS0_4arch9wavefront6targetE1EEEvT1_.kd
    .uniform_work_group_size: 1
    .uses_dynamic_stack: false
    .vgpr_count:     8
    .vgpr_spill_count: 0
    .wavefront_size: 64
  - .agpr_count:     0
    .args:
      - .offset:         0
        .size:           40
        .value_kind:     by_value
    .group_segment_fixed_size: 0
    .kernarg_segment_align: 8
    .kernarg_segment_size: 40
    .language:       OpenCL C
    .language_version:
      - 2
      - 0
    .max_flat_workgroup_size: 1024
    .name:           _ZN7rocprim17ROCPRIM_400000_NS6detail17trampoline_kernelINS0_14default_configENS1_25transform_config_selectorImLb1EEEZNS1_14transform_implILb1ES3_S5_PmPlNS0_8identityIvEEEE10hipError_tT2_T3_mT4_P12ihipStream_tbEUlT_E_NS1_11comp_targetILNS1_3genE4ELNS1_11target_archE910ELNS1_3gpuE8ELNS1_3repE0EEENS1_30default_config_static_selectorELNS0_4arch9wavefront6targetE1EEEvT1_
    .private_segment_fixed_size: 0
    .sgpr_count:     6
    .sgpr_spill_count: 0
    .symbol:         _ZN7rocprim17ROCPRIM_400000_NS6detail17trampoline_kernelINS0_14default_configENS1_25transform_config_selectorImLb1EEEZNS1_14transform_implILb1ES3_S5_PmPlNS0_8identityIvEEEE10hipError_tT2_T3_mT4_P12ihipStream_tbEUlT_E_NS1_11comp_targetILNS1_3genE4ELNS1_11target_archE910ELNS1_3gpuE8ELNS1_3repE0EEENS1_30default_config_static_selectorELNS0_4arch9wavefront6targetE1EEEvT1_.kd
    .uniform_work_group_size: 1
    .uses_dynamic_stack: false
    .vgpr_count:     0
    .vgpr_spill_count: 0
    .wavefront_size: 64
  - .agpr_count:     0
    .args:
      - .offset:         0
        .size:           40
        .value_kind:     by_value
    .group_segment_fixed_size: 0
    .kernarg_segment_align: 8
    .kernarg_segment_size: 40
    .language:       OpenCL C
    .language_version:
      - 2
      - 0
    .max_flat_workgroup_size: 128
    .name:           _ZN7rocprim17ROCPRIM_400000_NS6detail17trampoline_kernelINS0_14default_configENS1_25transform_config_selectorImLb1EEEZNS1_14transform_implILb1ES3_S5_PmPlNS0_8identityIvEEEE10hipError_tT2_T3_mT4_P12ihipStream_tbEUlT_E_NS1_11comp_targetILNS1_3genE3ELNS1_11target_archE908ELNS1_3gpuE7ELNS1_3repE0EEENS1_30default_config_static_selectorELNS0_4arch9wavefront6targetE1EEEvT1_
    .private_segment_fixed_size: 0
    .sgpr_count:     6
    .sgpr_spill_count: 0
    .symbol:         _ZN7rocprim17ROCPRIM_400000_NS6detail17trampoline_kernelINS0_14default_configENS1_25transform_config_selectorImLb1EEEZNS1_14transform_implILb1ES3_S5_PmPlNS0_8identityIvEEEE10hipError_tT2_T3_mT4_P12ihipStream_tbEUlT_E_NS1_11comp_targetILNS1_3genE3ELNS1_11target_archE908ELNS1_3gpuE7ELNS1_3repE0EEENS1_30default_config_static_selectorELNS0_4arch9wavefront6targetE1EEEvT1_.kd
    .uniform_work_group_size: 1
    .uses_dynamic_stack: false
    .vgpr_count:     0
    .vgpr_spill_count: 0
    .wavefront_size: 64
  - .agpr_count:     0
    .args:
      - .offset:         0
        .size:           40
        .value_kind:     by_value
    .group_segment_fixed_size: 0
    .kernarg_segment_align: 8
    .kernarg_segment_size: 40
    .language:       OpenCL C
    .language_version:
      - 2
      - 0
    .max_flat_workgroup_size: 512
    .name:           _ZN7rocprim17ROCPRIM_400000_NS6detail17trampoline_kernelINS0_14default_configENS1_25transform_config_selectorImLb1EEEZNS1_14transform_implILb1ES3_S5_PmPlNS0_8identityIvEEEE10hipError_tT2_T3_mT4_P12ihipStream_tbEUlT_E_NS1_11comp_targetILNS1_3genE2ELNS1_11target_archE906ELNS1_3gpuE6ELNS1_3repE0EEENS1_30default_config_static_selectorELNS0_4arch9wavefront6targetE1EEEvT1_
    .private_segment_fixed_size: 0
    .sgpr_count:     6
    .sgpr_spill_count: 0
    .symbol:         _ZN7rocprim17ROCPRIM_400000_NS6detail17trampoline_kernelINS0_14default_configENS1_25transform_config_selectorImLb1EEEZNS1_14transform_implILb1ES3_S5_PmPlNS0_8identityIvEEEE10hipError_tT2_T3_mT4_P12ihipStream_tbEUlT_E_NS1_11comp_targetILNS1_3genE2ELNS1_11target_archE906ELNS1_3gpuE6ELNS1_3repE0EEENS1_30default_config_static_selectorELNS0_4arch9wavefront6targetE1EEEvT1_.kd
    .uniform_work_group_size: 1
    .uses_dynamic_stack: false
    .vgpr_count:     0
    .vgpr_spill_count: 0
    .wavefront_size: 64
  - .agpr_count:     0
    .args:
      - .offset:         0
        .size:           40
        .value_kind:     by_value
    .group_segment_fixed_size: 0
    .kernarg_segment_align: 8
    .kernarg_segment_size: 40
    .language:       OpenCL C
    .language_version:
      - 2
      - 0
    .max_flat_workgroup_size: 1024
    .name:           _ZN7rocprim17ROCPRIM_400000_NS6detail17trampoline_kernelINS0_14default_configENS1_25transform_config_selectorImLb1EEEZNS1_14transform_implILb1ES3_S5_PmPlNS0_8identityIvEEEE10hipError_tT2_T3_mT4_P12ihipStream_tbEUlT_E_NS1_11comp_targetILNS1_3genE9ELNS1_11target_archE1100ELNS1_3gpuE3ELNS1_3repE0EEENS1_30default_config_static_selectorELNS0_4arch9wavefront6targetE1EEEvT1_
    .private_segment_fixed_size: 0
    .sgpr_count:     6
    .sgpr_spill_count: 0
    .symbol:         _ZN7rocprim17ROCPRIM_400000_NS6detail17trampoline_kernelINS0_14default_configENS1_25transform_config_selectorImLb1EEEZNS1_14transform_implILb1ES3_S5_PmPlNS0_8identityIvEEEE10hipError_tT2_T3_mT4_P12ihipStream_tbEUlT_E_NS1_11comp_targetILNS1_3genE9ELNS1_11target_archE1100ELNS1_3gpuE3ELNS1_3repE0EEENS1_30default_config_static_selectorELNS0_4arch9wavefront6targetE1EEEvT1_.kd
    .uniform_work_group_size: 1
    .uses_dynamic_stack: false
    .vgpr_count:     0
    .vgpr_spill_count: 0
    .wavefront_size: 64
  - .agpr_count:     0
    .args:
      - .offset:         0
        .size:           40
        .value_kind:     by_value
    .group_segment_fixed_size: 0
    .kernarg_segment_align: 8
    .kernarg_segment_size: 40
    .language:       OpenCL C
    .language_version:
      - 2
      - 0
    .max_flat_workgroup_size: 1024
    .name:           _ZN7rocprim17ROCPRIM_400000_NS6detail17trampoline_kernelINS0_14default_configENS1_25transform_config_selectorImLb1EEEZNS1_14transform_implILb1ES3_S5_PmPlNS0_8identityIvEEEE10hipError_tT2_T3_mT4_P12ihipStream_tbEUlT_E_NS1_11comp_targetILNS1_3genE8ELNS1_11target_archE1030ELNS1_3gpuE2ELNS1_3repE0EEENS1_30default_config_static_selectorELNS0_4arch9wavefront6targetE1EEEvT1_
    .private_segment_fixed_size: 0
    .sgpr_count:     6
    .sgpr_spill_count: 0
    .symbol:         _ZN7rocprim17ROCPRIM_400000_NS6detail17trampoline_kernelINS0_14default_configENS1_25transform_config_selectorImLb1EEEZNS1_14transform_implILb1ES3_S5_PmPlNS0_8identityIvEEEE10hipError_tT2_T3_mT4_P12ihipStream_tbEUlT_E_NS1_11comp_targetILNS1_3genE8ELNS1_11target_archE1030ELNS1_3gpuE2ELNS1_3repE0EEENS1_30default_config_static_selectorELNS0_4arch9wavefront6targetE1EEEvT1_.kd
    .uniform_work_group_size: 1
    .uses_dynamic_stack: false
    .vgpr_count:     0
    .vgpr_spill_count: 0
    .wavefront_size: 64
  - .agpr_count:     0
    .args:
      - .address_space:  global
        .offset:         0
        .size:           8
        .value_kind:     global_buffer
      - .offset:         8
        .size:           4
        .value_kind:     by_value
      - .address_space:  global
        .offset:         16
        .size:           8
        .value_kind:     global_buffer
      - .offset:         24
        .size:           4
        .value_kind:     by_value
      - .address_space:  global
        .offset:         32
        .size:           8
        .value_kind:     global_buffer
      - .offset:         40
        .size:           4
        .value_kind:     hidden_block_count_x
      - .offset:         44
        .size:           4
        .value_kind:     hidden_block_count_y
      - .offset:         48
        .size:           4
        .value_kind:     hidden_block_count_z
      - .offset:         52
        .size:           2
        .value_kind:     hidden_group_size_x
      - .offset:         54
        .size:           2
        .value_kind:     hidden_group_size_y
      - .offset:         56
        .size:           2
        .value_kind:     hidden_group_size_z
      - .offset:         58
        .size:           2
        .value_kind:     hidden_remainder_x
      - .offset:         60
        .size:           2
        .value_kind:     hidden_remainder_y
      - .offset:         62
        .size:           2
        .value_kind:     hidden_remainder_z
      - .offset:         80
        .size:           8
        .value_kind:     hidden_global_offset_x
      - .offset:         88
        .size:           8
        .value_kind:     hidden_global_offset_y
      - .offset:         96
        .size:           8
        .value_kind:     hidden_global_offset_z
      - .offset:         104
        .size:           2
        .value_kind:     hidden_grid_dims
    .group_segment_fixed_size: 0
    .kernarg_segment_align: 8
    .kernarg_segment_size: 296
    .language:       OpenCL C
    .language_version:
      - 2
      - 0
    .max_flat_workgroup_size: 256
    .name:           _ZN7rocprim17ROCPRIM_400000_NS6detail31init_lookback_scan_state_kernelINS1_19lookback_scan_stateIjLb1ELb1EEENS1_16block_id_wrapperIjLb1EEEEEvT_jT0_jPNS7_10value_typeE
    .private_segment_fixed_size: 0
    .sgpr_count:     20
    .sgpr_spill_count: 0
    .symbol:         _ZN7rocprim17ROCPRIM_400000_NS6detail31init_lookback_scan_state_kernelINS1_19lookback_scan_stateIjLb1ELb1EEENS1_16block_id_wrapperIjLb1EEEEEvT_jT0_jPNS7_10value_typeE.kd
    .uniform_work_group_size: 1
    .uses_dynamic_stack: false
    .vgpr_count:     6
    .vgpr_spill_count: 0
    .wavefront_size: 64
  - .agpr_count:     0
    .args:
      - .offset:         0
        .size:           128
        .value_kind:     by_value
    .group_segment_fixed_size: 0
    .kernarg_segment_align: 8
    .kernarg_segment_size: 128
    .language:       OpenCL C
    .language_version:
      - 2
      - 0
    .max_flat_workgroup_size: 256
    .name:           _ZN7rocprim17ROCPRIM_400000_NS6detail17trampoline_kernelINS0_14default_configENS1_25partition_config_selectorILNS1_17partition_subalgoE9EiibEEZZNS1_14partition_implILS5_9ELb0ES3_jPKiN6thrust23THRUST_200600_302600_NS17counting_iteratorIiNSB_11use_defaultESD_SD_EEPNS0_10empty_typeENS0_5tupleIJPiSF_EEENSH_IJSI_SG_EEENS0_18inequality_wrapperIN6hipcub16HIPCUB_304000_NS8EqualityEEEPlJSF_EEE10hipError_tPvRmT3_T4_T5_T6_T7_T9_mT8_P12ihipStream_tbDpT10_ENKUlT_T0_E_clISt17integral_constantIbLb1EES1A_EEDaS15_S16_EUlS15_E_NS1_11comp_targetILNS1_3genE0ELNS1_11target_archE4294967295ELNS1_3gpuE0ELNS1_3repE0EEENS1_30default_config_static_selectorELNS0_4arch9wavefront6targetE1EEEvT1_
    .private_segment_fixed_size: 0
    .sgpr_count:     6
    .sgpr_spill_count: 0
    .symbol:         _ZN7rocprim17ROCPRIM_400000_NS6detail17trampoline_kernelINS0_14default_configENS1_25partition_config_selectorILNS1_17partition_subalgoE9EiibEEZZNS1_14partition_implILS5_9ELb0ES3_jPKiN6thrust23THRUST_200600_302600_NS17counting_iteratorIiNSB_11use_defaultESD_SD_EEPNS0_10empty_typeENS0_5tupleIJPiSF_EEENSH_IJSI_SG_EEENS0_18inequality_wrapperIN6hipcub16HIPCUB_304000_NS8EqualityEEEPlJSF_EEE10hipError_tPvRmT3_T4_T5_T6_T7_T9_mT8_P12ihipStream_tbDpT10_ENKUlT_T0_E_clISt17integral_constantIbLb1EES1A_EEDaS15_S16_EUlS15_E_NS1_11comp_targetILNS1_3genE0ELNS1_11target_archE4294967295ELNS1_3gpuE0ELNS1_3repE0EEENS1_30default_config_static_selectorELNS0_4arch9wavefront6targetE1EEEvT1_.kd
    .uniform_work_group_size: 1
    .uses_dynamic_stack: false
    .vgpr_count:     0
    .vgpr_spill_count: 0
    .wavefront_size: 64
  - .agpr_count:     0
    .args:
      - .offset:         0
        .size:           128
        .value_kind:     by_value
    .group_segment_fixed_size: 30728
    .kernarg_segment_align: 8
    .kernarg_segment_size: 128
    .language:       OpenCL C
    .language_version:
      - 2
      - 0
    .max_flat_workgroup_size: 512
    .name:           _ZN7rocprim17ROCPRIM_400000_NS6detail17trampoline_kernelINS0_14default_configENS1_25partition_config_selectorILNS1_17partition_subalgoE9EiibEEZZNS1_14partition_implILS5_9ELb0ES3_jPKiN6thrust23THRUST_200600_302600_NS17counting_iteratorIiNSB_11use_defaultESD_SD_EEPNS0_10empty_typeENS0_5tupleIJPiSF_EEENSH_IJSI_SG_EEENS0_18inequality_wrapperIN6hipcub16HIPCUB_304000_NS8EqualityEEEPlJSF_EEE10hipError_tPvRmT3_T4_T5_T6_T7_T9_mT8_P12ihipStream_tbDpT10_ENKUlT_T0_E_clISt17integral_constantIbLb1EES1A_EEDaS15_S16_EUlS15_E_NS1_11comp_targetILNS1_3genE5ELNS1_11target_archE942ELNS1_3gpuE9ELNS1_3repE0EEENS1_30default_config_static_selectorELNS0_4arch9wavefront6targetE1EEEvT1_
    .private_segment_fixed_size: 0
    .sgpr_count:     59
    .sgpr_spill_count: 0
    .symbol:         _ZN7rocprim17ROCPRIM_400000_NS6detail17trampoline_kernelINS0_14default_configENS1_25partition_config_selectorILNS1_17partition_subalgoE9EiibEEZZNS1_14partition_implILS5_9ELb0ES3_jPKiN6thrust23THRUST_200600_302600_NS17counting_iteratorIiNSB_11use_defaultESD_SD_EEPNS0_10empty_typeENS0_5tupleIJPiSF_EEENSH_IJSI_SG_EEENS0_18inequality_wrapperIN6hipcub16HIPCUB_304000_NS8EqualityEEEPlJSF_EEE10hipError_tPvRmT3_T4_T5_T6_T7_T9_mT8_P12ihipStream_tbDpT10_ENKUlT_T0_E_clISt17integral_constantIbLb1EES1A_EEDaS15_S16_EUlS15_E_NS1_11comp_targetILNS1_3genE5ELNS1_11target_archE942ELNS1_3gpuE9ELNS1_3repE0EEENS1_30default_config_static_selectorELNS0_4arch9wavefront6targetE1EEEvT1_.kd
    .uniform_work_group_size: 1
    .uses_dynamic_stack: false
    .vgpr_count:     102
    .vgpr_spill_count: 0
    .wavefront_size: 64
  - .agpr_count:     0
    .args:
      - .offset:         0
        .size:           128
        .value_kind:     by_value
    .group_segment_fixed_size: 0
    .kernarg_segment_align: 8
    .kernarg_segment_size: 128
    .language:       OpenCL C
    .language_version:
      - 2
      - 0
    .max_flat_workgroup_size: 192
    .name:           _ZN7rocprim17ROCPRIM_400000_NS6detail17trampoline_kernelINS0_14default_configENS1_25partition_config_selectorILNS1_17partition_subalgoE9EiibEEZZNS1_14partition_implILS5_9ELb0ES3_jPKiN6thrust23THRUST_200600_302600_NS17counting_iteratorIiNSB_11use_defaultESD_SD_EEPNS0_10empty_typeENS0_5tupleIJPiSF_EEENSH_IJSI_SG_EEENS0_18inequality_wrapperIN6hipcub16HIPCUB_304000_NS8EqualityEEEPlJSF_EEE10hipError_tPvRmT3_T4_T5_T6_T7_T9_mT8_P12ihipStream_tbDpT10_ENKUlT_T0_E_clISt17integral_constantIbLb1EES1A_EEDaS15_S16_EUlS15_E_NS1_11comp_targetILNS1_3genE4ELNS1_11target_archE910ELNS1_3gpuE8ELNS1_3repE0EEENS1_30default_config_static_selectorELNS0_4arch9wavefront6targetE1EEEvT1_
    .private_segment_fixed_size: 0
    .sgpr_count:     6
    .sgpr_spill_count: 0
    .symbol:         _ZN7rocprim17ROCPRIM_400000_NS6detail17trampoline_kernelINS0_14default_configENS1_25partition_config_selectorILNS1_17partition_subalgoE9EiibEEZZNS1_14partition_implILS5_9ELb0ES3_jPKiN6thrust23THRUST_200600_302600_NS17counting_iteratorIiNSB_11use_defaultESD_SD_EEPNS0_10empty_typeENS0_5tupleIJPiSF_EEENSH_IJSI_SG_EEENS0_18inequality_wrapperIN6hipcub16HIPCUB_304000_NS8EqualityEEEPlJSF_EEE10hipError_tPvRmT3_T4_T5_T6_T7_T9_mT8_P12ihipStream_tbDpT10_ENKUlT_T0_E_clISt17integral_constantIbLb1EES1A_EEDaS15_S16_EUlS15_E_NS1_11comp_targetILNS1_3genE4ELNS1_11target_archE910ELNS1_3gpuE8ELNS1_3repE0EEENS1_30default_config_static_selectorELNS0_4arch9wavefront6targetE1EEEvT1_.kd
    .uniform_work_group_size: 1
    .uses_dynamic_stack: false
    .vgpr_count:     0
    .vgpr_spill_count: 0
    .wavefront_size: 64
  - .agpr_count:     0
    .args:
      - .offset:         0
        .size:           128
        .value_kind:     by_value
    .group_segment_fixed_size: 0
    .kernarg_segment_align: 8
    .kernarg_segment_size: 128
    .language:       OpenCL C
    .language_version:
      - 2
      - 0
    .max_flat_workgroup_size: 256
    .name:           _ZN7rocprim17ROCPRIM_400000_NS6detail17trampoline_kernelINS0_14default_configENS1_25partition_config_selectorILNS1_17partition_subalgoE9EiibEEZZNS1_14partition_implILS5_9ELb0ES3_jPKiN6thrust23THRUST_200600_302600_NS17counting_iteratorIiNSB_11use_defaultESD_SD_EEPNS0_10empty_typeENS0_5tupleIJPiSF_EEENSH_IJSI_SG_EEENS0_18inequality_wrapperIN6hipcub16HIPCUB_304000_NS8EqualityEEEPlJSF_EEE10hipError_tPvRmT3_T4_T5_T6_T7_T9_mT8_P12ihipStream_tbDpT10_ENKUlT_T0_E_clISt17integral_constantIbLb1EES1A_EEDaS15_S16_EUlS15_E_NS1_11comp_targetILNS1_3genE3ELNS1_11target_archE908ELNS1_3gpuE7ELNS1_3repE0EEENS1_30default_config_static_selectorELNS0_4arch9wavefront6targetE1EEEvT1_
    .private_segment_fixed_size: 0
    .sgpr_count:     6
    .sgpr_spill_count: 0
    .symbol:         _ZN7rocprim17ROCPRIM_400000_NS6detail17trampoline_kernelINS0_14default_configENS1_25partition_config_selectorILNS1_17partition_subalgoE9EiibEEZZNS1_14partition_implILS5_9ELb0ES3_jPKiN6thrust23THRUST_200600_302600_NS17counting_iteratorIiNSB_11use_defaultESD_SD_EEPNS0_10empty_typeENS0_5tupleIJPiSF_EEENSH_IJSI_SG_EEENS0_18inequality_wrapperIN6hipcub16HIPCUB_304000_NS8EqualityEEEPlJSF_EEE10hipError_tPvRmT3_T4_T5_T6_T7_T9_mT8_P12ihipStream_tbDpT10_ENKUlT_T0_E_clISt17integral_constantIbLb1EES1A_EEDaS15_S16_EUlS15_E_NS1_11comp_targetILNS1_3genE3ELNS1_11target_archE908ELNS1_3gpuE7ELNS1_3repE0EEENS1_30default_config_static_selectorELNS0_4arch9wavefront6targetE1EEEvT1_.kd
    .uniform_work_group_size: 1
    .uses_dynamic_stack: false
    .vgpr_count:     0
    .vgpr_spill_count: 0
    .wavefront_size: 64
  - .agpr_count:     0
    .args:
      - .offset:         0
        .size:           128
        .value_kind:     by_value
    .group_segment_fixed_size: 0
    .kernarg_segment_align: 8
    .kernarg_segment_size: 128
    .language:       OpenCL C
    .language_version:
      - 2
      - 0
    .max_flat_workgroup_size: 256
    .name:           _ZN7rocprim17ROCPRIM_400000_NS6detail17trampoline_kernelINS0_14default_configENS1_25partition_config_selectorILNS1_17partition_subalgoE9EiibEEZZNS1_14partition_implILS5_9ELb0ES3_jPKiN6thrust23THRUST_200600_302600_NS17counting_iteratorIiNSB_11use_defaultESD_SD_EEPNS0_10empty_typeENS0_5tupleIJPiSF_EEENSH_IJSI_SG_EEENS0_18inequality_wrapperIN6hipcub16HIPCUB_304000_NS8EqualityEEEPlJSF_EEE10hipError_tPvRmT3_T4_T5_T6_T7_T9_mT8_P12ihipStream_tbDpT10_ENKUlT_T0_E_clISt17integral_constantIbLb1EES1A_EEDaS15_S16_EUlS15_E_NS1_11comp_targetILNS1_3genE2ELNS1_11target_archE906ELNS1_3gpuE6ELNS1_3repE0EEENS1_30default_config_static_selectorELNS0_4arch9wavefront6targetE1EEEvT1_
    .private_segment_fixed_size: 0
    .sgpr_count:     6
    .sgpr_spill_count: 0
    .symbol:         _ZN7rocprim17ROCPRIM_400000_NS6detail17trampoline_kernelINS0_14default_configENS1_25partition_config_selectorILNS1_17partition_subalgoE9EiibEEZZNS1_14partition_implILS5_9ELb0ES3_jPKiN6thrust23THRUST_200600_302600_NS17counting_iteratorIiNSB_11use_defaultESD_SD_EEPNS0_10empty_typeENS0_5tupleIJPiSF_EEENSH_IJSI_SG_EEENS0_18inequality_wrapperIN6hipcub16HIPCUB_304000_NS8EqualityEEEPlJSF_EEE10hipError_tPvRmT3_T4_T5_T6_T7_T9_mT8_P12ihipStream_tbDpT10_ENKUlT_T0_E_clISt17integral_constantIbLb1EES1A_EEDaS15_S16_EUlS15_E_NS1_11comp_targetILNS1_3genE2ELNS1_11target_archE906ELNS1_3gpuE6ELNS1_3repE0EEENS1_30default_config_static_selectorELNS0_4arch9wavefront6targetE1EEEvT1_.kd
    .uniform_work_group_size: 1
    .uses_dynamic_stack: false
    .vgpr_count:     0
    .vgpr_spill_count: 0
    .wavefront_size: 64
  - .agpr_count:     0
    .args:
      - .offset:         0
        .size:           128
        .value_kind:     by_value
    .group_segment_fixed_size: 0
    .kernarg_segment_align: 8
    .kernarg_segment_size: 128
    .language:       OpenCL C
    .language_version:
      - 2
      - 0
    .max_flat_workgroup_size: 384
    .name:           _ZN7rocprim17ROCPRIM_400000_NS6detail17trampoline_kernelINS0_14default_configENS1_25partition_config_selectorILNS1_17partition_subalgoE9EiibEEZZNS1_14partition_implILS5_9ELb0ES3_jPKiN6thrust23THRUST_200600_302600_NS17counting_iteratorIiNSB_11use_defaultESD_SD_EEPNS0_10empty_typeENS0_5tupleIJPiSF_EEENSH_IJSI_SG_EEENS0_18inequality_wrapperIN6hipcub16HIPCUB_304000_NS8EqualityEEEPlJSF_EEE10hipError_tPvRmT3_T4_T5_T6_T7_T9_mT8_P12ihipStream_tbDpT10_ENKUlT_T0_E_clISt17integral_constantIbLb1EES1A_EEDaS15_S16_EUlS15_E_NS1_11comp_targetILNS1_3genE10ELNS1_11target_archE1200ELNS1_3gpuE4ELNS1_3repE0EEENS1_30default_config_static_selectorELNS0_4arch9wavefront6targetE1EEEvT1_
    .private_segment_fixed_size: 0
    .sgpr_count:     6
    .sgpr_spill_count: 0
    .symbol:         _ZN7rocprim17ROCPRIM_400000_NS6detail17trampoline_kernelINS0_14default_configENS1_25partition_config_selectorILNS1_17partition_subalgoE9EiibEEZZNS1_14partition_implILS5_9ELb0ES3_jPKiN6thrust23THRUST_200600_302600_NS17counting_iteratorIiNSB_11use_defaultESD_SD_EEPNS0_10empty_typeENS0_5tupleIJPiSF_EEENSH_IJSI_SG_EEENS0_18inequality_wrapperIN6hipcub16HIPCUB_304000_NS8EqualityEEEPlJSF_EEE10hipError_tPvRmT3_T4_T5_T6_T7_T9_mT8_P12ihipStream_tbDpT10_ENKUlT_T0_E_clISt17integral_constantIbLb1EES1A_EEDaS15_S16_EUlS15_E_NS1_11comp_targetILNS1_3genE10ELNS1_11target_archE1200ELNS1_3gpuE4ELNS1_3repE0EEENS1_30default_config_static_selectorELNS0_4arch9wavefront6targetE1EEEvT1_.kd
    .uniform_work_group_size: 1
    .uses_dynamic_stack: false
    .vgpr_count:     0
    .vgpr_spill_count: 0
    .wavefront_size: 64
  - .agpr_count:     0
    .args:
      - .offset:         0
        .size:           128
        .value_kind:     by_value
    .group_segment_fixed_size: 0
    .kernarg_segment_align: 8
    .kernarg_segment_size: 128
    .language:       OpenCL C
    .language_version:
      - 2
      - 0
    .max_flat_workgroup_size: 384
    .name:           _ZN7rocprim17ROCPRIM_400000_NS6detail17trampoline_kernelINS0_14default_configENS1_25partition_config_selectorILNS1_17partition_subalgoE9EiibEEZZNS1_14partition_implILS5_9ELb0ES3_jPKiN6thrust23THRUST_200600_302600_NS17counting_iteratorIiNSB_11use_defaultESD_SD_EEPNS0_10empty_typeENS0_5tupleIJPiSF_EEENSH_IJSI_SG_EEENS0_18inequality_wrapperIN6hipcub16HIPCUB_304000_NS8EqualityEEEPlJSF_EEE10hipError_tPvRmT3_T4_T5_T6_T7_T9_mT8_P12ihipStream_tbDpT10_ENKUlT_T0_E_clISt17integral_constantIbLb1EES1A_EEDaS15_S16_EUlS15_E_NS1_11comp_targetILNS1_3genE9ELNS1_11target_archE1100ELNS1_3gpuE3ELNS1_3repE0EEENS1_30default_config_static_selectorELNS0_4arch9wavefront6targetE1EEEvT1_
    .private_segment_fixed_size: 0
    .sgpr_count:     6
    .sgpr_spill_count: 0
    .symbol:         _ZN7rocprim17ROCPRIM_400000_NS6detail17trampoline_kernelINS0_14default_configENS1_25partition_config_selectorILNS1_17partition_subalgoE9EiibEEZZNS1_14partition_implILS5_9ELb0ES3_jPKiN6thrust23THRUST_200600_302600_NS17counting_iteratorIiNSB_11use_defaultESD_SD_EEPNS0_10empty_typeENS0_5tupleIJPiSF_EEENSH_IJSI_SG_EEENS0_18inequality_wrapperIN6hipcub16HIPCUB_304000_NS8EqualityEEEPlJSF_EEE10hipError_tPvRmT3_T4_T5_T6_T7_T9_mT8_P12ihipStream_tbDpT10_ENKUlT_T0_E_clISt17integral_constantIbLb1EES1A_EEDaS15_S16_EUlS15_E_NS1_11comp_targetILNS1_3genE9ELNS1_11target_archE1100ELNS1_3gpuE3ELNS1_3repE0EEENS1_30default_config_static_selectorELNS0_4arch9wavefront6targetE1EEEvT1_.kd
    .uniform_work_group_size: 1
    .uses_dynamic_stack: false
    .vgpr_count:     0
    .vgpr_spill_count: 0
    .wavefront_size: 64
  - .agpr_count:     0
    .args:
      - .offset:         0
        .size:           128
        .value_kind:     by_value
    .group_segment_fixed_size: 0
    .kernarg_segment_align: 8
    .kernarg_segment_size: 128
    .language:       OpenCL C
    .language_version:
      - 2
      - 0
    .max_flat_workgroup_size: 512
    .name:           _ZN7rocprim17ROCPRIM_400000_NS6detail17trampoline_kernelINS0_14default_configENS1_25partition_config_selectorILNS1_17partition_subalgoE9EiibEEZZNS1_14partition_implILS5_9ELb0ES3_jPKiN6thrust23THRUST_200600_302600_NS17counting_iteratorIiNSB_11use_defaultESD_SD_EEPNS0_10empty_typeENS0_5tupleIJPiSF_EEENSH_IJSI_SG_EEENS0_18inequality_wrapperIN6hipcub16HIPCUB_304000_NS8EqualityEEEPlJSF_EEE10hipError_tPvRmT3_T4_T5_T6_T7_T9_mT8_P12ihipStream_tbDpT10_ENKUlT_T0_E_clISt17integral_constantIbLb1EES1A_EEDaS15_S16_EUlS15_E_NS1_11comp_targetILNS1_3genE8ELNS1_11target_archE1030ELNS1_3gpuE2ELNS1_3repE0EEENS1_30default_config_static_selectorELNS0_4arch9wavefront6targetE1EEEvT1_
    .private_segment_fixed_size: 0
    .sgpr_count:     6
    .sgpr_spill_count: 0
    .symbol:         _ZN7rocprim17ROCPRIM_400000_NS6detail17trampoline_kernelINS0_14default_configENS1_25partition_config_selectorILNS1_17partition_subalgoE9EiibEEZZNS1_14partition_implILS5_9ELb0ES3_jPKiN6thrust23THRUST_200600_302600_NS17counting_iteratorIiNSB_11use_defaultESD_SD_EEPNS0_10empty_typeENS0_5tupleIJPiSF_EEENSH_IJSI_SG_EEENS0_18inequality_wrapperIN6hipcub16HIPCUB_304000_NS8EqualityEEEPlJSF_EEE10hipError_tPvRmT3_T4_T5_T6_T7_T9_mT8_P12ihipStream_tbDpT10_ENKUlT_T0_E_clISt17integral_constantIbLb1EES1A_EEDaS15_S16_EUlS15_E_NS1_11comp_targetILNS1_3genE8ELNS1_11target_archE1030ELNS1_3gpuE2ELNS1_3repE0EEENS1_30default_config_static_selectorELNS0_4arch9wavefront6targetE1EEEvT1_.kd
    .uniform_work_group_size: 1
    .uses_dynamic_stack: false
    .vgpr_count:     0
    .vgpr_spill_count: 0
    .wavefront_size: 64
  - .agpr_count:     0
    .args:
      - .address_space:  global
        .offset:         0
        .size:           8
        .value_kind:     global_buffer
      - .offset:         8
        .size:           4
        .value_kind:     by_value
      - .offset:         12
        .size:           1
        .value_kind:     by_value
      - .offset:         16
        .size:           4
        .value_kind:     by_value
      - .address_space:  global
        .offset:         24
        .size:           8
        .value_kind:     global_buffer
      - .offset:         32
        .size:           4
        .value_kind:     hidden_block_count_x
      - .offset:         36
        .size:           4
        .value_kind:     hidden_block_count_y
      - .offset:         40
        .size:           4
        .value_kind:     hidden_block_count_z
      - .offset:         44
        .size:           2
        .value_kind:     hidden_group_size_x
      - .offset:         46
        .size:           2
        .value_kind:     hidden_group_size_y
      - .offset:         48
        .size:           2
        .value_kind:     hidden_group_size_z
      - .offset:         50
        .size:           2
        .value_kind:     hidden_remainder_x
      - .offset:         52
        .size:           2
        .value_kind:     hidden_remainder_y
      - .offset:         54
        .size:           2
        .value_kind:     hidden_remainder_z
      - .offset:         72
        .size:           8
        .value_kind:     hidden_global_offset_x
      - .offset:         80
        .size:           8
        .value_kind:     hidden_global_offset_y
      - .offset:         88
        .size:           8
        .value_kind:     hidden_global_offset_z
      - .offset:         96
        .size:           2
        .value_kind:     hidden_grid_dims
    .group_segment_fixed_size: 0
    .kernarg_segment_align: 8
    .kernarg_segment_size: 288
    .language:       OpenCL C
    .language_version:
      - 2
      - 0
    .max_flat_workgroup_size: 256
    .name:           _ZN7rocprim17ROCPRIM_400000_NS6detail31init_lookback_scan_state_kernelINS1_19lookback_scan_stateIjLb1ELb1EEENS1_16block_id_wrapperIjLb0EEEEEvT_jT0_jPNS7_10value_typeE
    .private_segment_fixed_size: 0
    .sgpr_count:     18
    .sgpr_spill_count: 0
    .symbol:         _ZN7rocprim17ROCPRIM_400000_NS6detail31init_lookback_scan_state_kernelINS1_19lookback_scan_stateIjLb1ELb1EEENS1_16block_id_wrapperIjLb0EEEEEvT_jT0_jPNS7_10value_typeE.kd
    .uniform_work_group_size: 1
    .uses_dynamic_stack: false
    .vgpr_count:     6
    .vgpr_spill_count: 0
    .wavefront_size: 64
  - .agpr_count:     0
    .args:
      - .offset:         0
        .size:           112
        .value_kind:     by_value
    .group_segment_fixed_size: 0
    .kernarg_segment_align: 8
    .kernarg_segment_size: 112
    .language:       OpenCL C
    .language_version:
      - 2
      - 0
    .max_flat_workgroup_size: 256
    .name:           _ZN7rocprim17ROCPRIM_400000_NS6detail17trampoline_kernelINS0_14default_configENS1_25partition_config_selectorILNS1_17partition_subalgoE9EiibEEZZNS1_14partition_implILS5_9ELb0ES3_jPKiN6thrust23THRUST_200600_302600_NS17counting_iteratorIiNSB_11use_defaultESD_SD_EEPNS0_10empty_typeENS0_5tupleIJPiSF_EEENSH_IJSI_SG_EEENS0_18inequality_wrapperIN6hipcub16HIPCUB_304000_NS8EqualityEEEPlJSF_EEE10hipError_tPvRmT3_T4_T5_T6_T7_T9_mT8_P12ihipStream_tbDpT10_ENKUlT_T0_E_clISt17integral_constantIbLb1EES19_IbLb0EEEEDaS15_S16_EUlS15_E_NS1_11comp_targetILNS1_3genE0ELNS1_11target_archE4294967295ELNS1_3gpuE0ELNS1_3repE0EEENS1_30default_config_static_selectorELNS0_4arch9wavefront6targetE1EEEvT1_
    .private_segment_fixed_size: 0
    .sgpr_count:     6
    .sgpr_spill_count: 0
    .symbol:         _ZN7rocprim17ROCPRIM_400000_NS6detail17trampoline_kernelINS0_14default_configENS1_25partition_config_selectorILNS1_17partition_subalgoE9EiibEEZZNS1_14partition_implILS5_9ELb0ES3_jPKiN6thrust23THRUST_200600_302600_NS17counting_iteratorIiNSB_11use_defaultESD_SD_EEPNS0_10empty_typeENS0_5tupleIJPiSF_EEENSH_IJSI_SG_EEENS0_18inequality_wrapperIN6hipcub16HIPCUB_304000_NS8EqualityEEEPlJSF_EEE10hipError_tPvRmT3_T4_T5_T6_T7_T9_mT8_P12ihipStream_tbDpT10_ENKUlT_T0_E_clISt17integral_constantIbLb1EES19_IbLb0EEEEDaS15_S16_EUlS15_E_NS1_11comp_targetILNS1_3genE0ELNS1_11target_archE4294967295ELNS1_3gpuE0ELNS1_3repE0EEENS1_30default_config_static_selectorELNS0_4arch9wavefront6targetE1EEEvT1_.kd
    .uniform_work_group_size: 1
    .uses_dynamic_stack: false
    .vgpr_count:     0
    .vgpr_spill_count: 0
    .wavefront_size: 64
  - .agpr_count:     0
    .args:
      - .offset:         0
        .size:           112
        .value_kind:     by_value
    .group_segment_fixed_size: 30728
    .kernarg_segment_align: 8
    .kernarg_segment_size: 112
    .language:       OpenCL C
    .language_version:
      - 2
      - 0
    .max_flat_workgroup_size: 512
    .name:           _ZN7rocprim17ROCPRIM_400000_NS6detail17trampoline_kernelINS0_14default_configENS1_25partition_config_selectorILNS1_17partition_subalgoE9EiibEEZZNS1_14partition_implILS5_9ELb0ES3_jPKiN6thrust23THRUST_200600_302600_NS17counting_iteratorIiNSB_11use_defaultESD_SD_EEPNS0_10empty_typeENS0_5tupleIJPiSF_EEENSH_IJSI_SG_EEENS0_18inequality_wrapperIN6hipcub16HIPCUB_304000_NS8EqualityEEEPlJSF_EEE10hipError_tPvRmT3_T4_T5_T6_T7_T9_mT8_P12ihipStream_tbDpT10_ENKUlT_T0_E_clISt17integral_constantIbLb1EES19_IbLb0EEEEDaS15_S16_EUlS15_E_NS1_11comp_targetILNS1_3genE5ELNS1_11target_archE942ELNS1_3gpuE9ELNS1_3repE0EEENS1_30default_config_static_selectorELNS0_4arch9wavefront6targetE1EEEvT1_
    .private_segment_fixed_size: 0
    .sgpr_count:     54
    .sgpr_spill_count: 0
    .symbol:         _ZN7rocprim17ROCPRIM_400000_NS6detail17trampoline_kernelINS0_14default_configENS1_25partition_config_selectorILNS1_17partition_subalgoE9EiibEEZZNS1_14partition_implILS5_9ELb0ES3_jPKiN6thrust23THRUST_200600_302600_NS17counting_iteratorIiNSB_11use_defaultESD_SD_EEPNS0_10empty_typeENS0_5tupleIJPiSF_EEENSH_IJSI_SG_EEENS0_18inequality_wrapperIN6hipcub16HIPCUB_304000_NS8EqualityEEEPlJSF_EEE10hipError_tPvRmT3_T4_T5_T6_T7_T9_mT8_P12ihipStream_tbDpT10_ENKUlT_T0_E_clISt17integral_constantIbLb1EES19_IbLb0EEEEDaS15_S16_EUlS15_E_NS1_11comp_targetILNS1_3genE5ELNS1_11target_archE942ELNS1_3gpuE9ELNS1_3repE0EEENS1_30default_config_static_selectorELNS0_4arch9wavefront6targetE1EEEvT1_.kd
    .uniform_work_group_size: 1
    .uses_dynamic_stack: false
    .vgpr_count:     100
    .vgpr_spill_count: 0
    .wavefront_size: 64
  - .agpr_count:     0
    .args:
      - .offset:         0
        .size:           112
        .value_kind:     by_value
    .group_segment_fixed_size: 0
    .kernarg_segment_align: 8
    .kernarg_segment_size: 112
    .language:       OpenCL C
    .language_version:
      - 2
      - 0
    .max_flat_workgroup_size: 192
    .name:           _ZN7rocprim17ROCPRIM_400000_NS6detail17trampoline_kernelINS0_14default_configENS1_25partition_config_selectorILNS1_17partition_subalgoE9EiibEEZZNS1_14partition_implILS5_9ELb0ES3_jPKiN6thrust23THRUST_200600_302600_NS17counting_iteratorIiNSB_11use_defaultESD_SD_EEPNS0_10empty_typeENS0_5tupleIJPiSF_EEENSH_IJSI_SG_EEENS0_18inequality_wrapperIN6hipcub16HIPCUB_304000_NS8EqualityEEEPlJSF_EEE10hipError_tPvRmT3_T4_T5_T6_T7_T9_mT8_P12ihipStream_tbDpT10_ENKUlT_T0_E_clISt17integral_constantIbLb1EES19_IbLb0EEEEDaS15_S16_EUlS15_E_NS1_11comp_targetILNS1_3genE4ELNS1_11target_archE910ELNS1_3gpuE8ELNS1_3repE0EEENS1_30default_config_static_selectorELNS0_4arch9wavefront6targetE1EEEvT1_
    .private_segment_fixed_size: 0
    .sgpr_count:     6
    .sgpr_spill_count: 0
    .symbol:         _ZN7rocprim17ROCPRIM_400000_NS6detail17trampoline_kernelINS0_14default_configENS1_25partition_config_selectorILNS1_17partition_subalgoE9EiibEEZZNS1_14partition_implILS5_9ELb0ES3_jPKiN6thrust23THRUST_200600_302600_NS17counting_iteratorIiNSB_11use_defaultESD_SD_EEPNS0_10empty_typeENS0_5tupleIJPiSF_EEENSH_IJSI_SG_EEENS0_18inequality_wrapperIN6hipcub16HIPCUB_304000_NS8EqualityEEEPlJSF_EEE10hipError_tPvRmT3_T4_T5_T6_T7_T9_mT8_P12ihipStream_tbDpT10_ENKUlT_T0_E_clISt17integral_constantIbLb1EES19_IbLb0EEEEDaS15_S16_EUlS15_E_NS1_11comp_targetILNS1_3genE4ELNS1_11target_archE910ELNS1_3gpuE8ELNS1_3repE0EEENS1_30default_config_static_selectorELNS0_4arch9wavefront6targetE1EEEvT1_.kd
    .uniform_work_group_size: 1
    .uses_dynamic_stack: false
    .vgpr_count:     0
    .vgpr_spill_count: 0
    .wavefront_size: 64
  - .agpr_count:     0
    .args:
      - .offset:         0
        .size:           112
        .value_kind:     by_value
    .group_segment_fixed_size: 0
    .kernarg_segment_align: 8
    .kernarg_segment_size: 112
    .language:       OpenCL C
    .language_version:
      - 2
      - 0
    .max_flat_workgroup_size: 256
    .name:           _ZN7rocprim17ROCPRIM_400000_NS6detail17trampoline_kernelINS0_14default_configENS1_25partition_config_selectorILNS1_17partition_subalgoE9EiibEEZZNS1_14partition_implILS5_9ELb0ES3_jPKiN6thrust23THRUST_200600_302600_NS17counting_iteratorIiNSB_11use_defaultESD_SD_EEPNS0_10empty_typeENS0_5tupleIJPiSF_EEENSH_IJSI_SG_EEENS0_18inequality_wrapperIN6hipcub16HIPCUB_304000_NS8EqualityEEEPlJSF_EEE10hipError_tPvRmT3_T4_T5_T6_T7_T9_mT8_P12ihipStream_tbDpT10_ENKUlT_T0_E_clISt17integral_constantIbLb1EES19_IbLb0EEEEDaS15_S16_EUlS15_E_NS1_11comp_targetILNS1_3genE3ELNS1_11target_archE908ELNS1_3gpuE7ELNS1_3repE0EEENS1_30default_config_static_selectorELNS0_4arch9wavefront6targetE1EEEvT1_
    .private_segment_fixed_size: 0
    .sgpr_count:     6
    .sgpr_spill_count: 0
    .symbol:         _ZN7rocprim17ROCPRIM_400000_NS6detail17trampoline_kernelINS0_14default_configENS1_25partition_config_selectorILNS1_17partition_subalgoE9EiibEEZZNS1_14partition_implILS5_9ELb0ES3_jPKiN6thrust23THRUST_200600_302600_NS17counting_iteratorIiNSB_11use_defaultESD_SD_EEPNS0_10empty_typeENS0_5tupleIJPiSF_EEENSH_IJSI_SG_EEENS0_18inequality_wrapperIN6hipcub16HIPCUB_304000_NS8EqualityEEEPlJSF_EEE10hipError_tPvRmT3_T4_T5_T6_T7_T9_mT8_P12ihipStream_tbDpT10_ENKUlT_T0_E_clISt17integral_constantIbLb1EES19_IbLb0EEEEDaS15_S16_EUlS15_E_NS1_11comp_targetILNS1_3genE3ELNS1_11target_archE908ELNS1_3gpuE7ELNS1_3repE0EEENS1_30default_config_static_selectorELNS0_4arch9wavefront6targetE1EEEvT1_.kd
    .uniform_work_group_size: 1
    .uses_dynamic_stack: false
    .vgpr_count:     0
    .vgpr_spill_count: 0
    .wavefront_size: 64
  - .agpr_count:     0
    .args:
      - .offset:         0
        .size:           112
        .value_kind:     by_value
    .group_segment_fixed_size: 0
    .kernarg_segment_align: 8
    .kernarg_segment_size: 112
    .language:       OpenCL C
    .language_version:
      - 2
      - 0
    .max_flat_workgroup_size: 256
    .name:           _ZN7rocprim17ROCPRIM_400000_NS6detail17trampoline_kernelINS0_14default_configENS1_25partition_config_selectorILNS1_17partition_subalgoE9EiibEEZZNS1_14partition_implILS5_9ELb0ES3_jPKiN6thrust23THRUST_200600_302600_NS17counting_iteratorIiNSB_11use_defaultESD_SD_EEPNS0_10empty_typeENS0_5tupleIJPiSF_EEENSH_IJSI_SG_EEENS0_18inequality_wrapperIN6hipcub16HIPCUB_304000_NS8EqualityEEEPlJSF_EEE10hipError_tPvRmT3_T4_T5_T6_T7_T9_mT8_P12ihipStream_tbDpT10_ENKUlT_T0_E_clISt17integral_constantIbLb1EES19_IbLb0EEEEDaS15_S16_EUlS15_E_NS1_11comp_targetILNS1_3genE2ELNS1_11target_archE906ELNS1_3gpuE6ELNS1_3repE0EEENS1_30default_config_static_selectorELNS0_4arch9wavefront6targetE1EEEvT1_
    .private_segment_fixed_size: 0
    .sgpr_count:     6
    .sgpr_spill_count: 0
    .symbol:         _ZN7rocprim17ROCPRIM_400000_NS6detail17trampoline_kernelINS0_14default_configENS1_25partition_config_selectorILNS1_17partition_subalgoE9EiibEEZZNS1_14partition_implILS5_9ELb0ES3_jPKiN6thrust23THRUST_200600_302600_NS17counting_iteratorIiNSB_11use_defaultESD_SD_EEPNS0_10empty_typeENS0_5tupleIJPiSF_EEENSH_IJSI_SG_EEENS0_18inequality_wrapperIN6hipcub16HIPCUB_304000_NS8EqualityEEEPlJSF_EEE10hipError_tPvRmT3_T4_T5_T6_T7_T9_mT8_P12ihipStream_tbDpT10_ENKUlT_T0_E_clISt17integral_constantIbLb1EES19_IbLb0EEEEDaS15_S16_EUlS15_E_NS1_11comp_targetILNS1_3genE2ELNS1_11target_archE906ELNS1_3gpuE6ELNS1_3repE0EEENS1_30default_config_static_selectorELNS0_4arch9wavefront6targetE1EEEvT1_.kd
    .uniform_work_group_size: 1
    .uses_dynamic_stack: false
    .vgpr_count:     0
    .vgpr_spill_count: 0
    .wavefront_size: 64
  - .agpr_count:     0
    .args:
      - .offset:         0
        .size:           112
        .value_kind:     by_value
    .group_segment_fixed_size: 0
    .kernarg_segment_align: 8
    .kernarg_segment_size: 112
    .language:       OpenCL C
    .language_version:
      - 2
      - 0
    .max_flat_workgroup_size: 384
    .name:           _ZN7rocprim17ROCPRIM_400000_NS6detail17trampoline_kernelINS0_14default_configENS1_25partition_config_selectorILNS1_17partition_subalgoE9EiibEEZZNS1_14partition_implILS5_9ELb0ES3_jPKiN6thrust23THRUST_200600_302600_NS17counting_iteratorIiNSB_11use_defaultESD_SD_EEPNS0_10empty_typeENS0_5tupleIJPiSF_EEENSH_IJSI_SG_EEENS0_18inequality_wrapperIN6hipcub16HIPCUB_304000_NS8EqualityEEEPlJSF_EEE10hipError_tPvRmT3_T4_T5_T6_T7_T9_mT8_P12ihipStream_tbDpT10_ENKUlT_T0_E_clISt17integral_constantIbLb1EES19_IbLb0EEEEDaS15_S16_EUlS15_E_NS1_11comp_targetILNS1_3genE10ELNS1_11target_archE1200ELNS1_3gpuE4ELNS1_3repE0EEENS1_30default_config_static_selectorELNS0_4arch9wavefront6targetE1EEEvT1_
    .private_segment_fixed_size: 0
    .sgpr_count:     6
    .sgpr_spill_count: 0
    .symbol:         _ZN7rocprim17ROCPRIM_400000_NS6detail17trampoline_kernelINS0_14default_configENS1_25partition_config_selectorILNS1_17partition_subalgoE9EiibEEZZNS1_14partition_implILS5_9ELb0ES3_jPKiN6thrust23THRUST_200600_302600_NS17counting_iteratorIiNSB_11use_defaultESD_SD_EEPNS0_10empty_typeENS0_5tupleIJPiSF_EEENSH_IJSI_SG_EEENS0_18inequality_wrapperIN6hipcub16HIPCUB_304000_NS8EqualityEEEPlJSF_EEE10hipError_tPvRmT3_T4_T5_T6_T7_T9_mT8_P12ihipStream_tbDpT10_ENKUlT_T0_E_clISt17integral_constantIbLb1EES19_IbLb0EEEEDaS15_S16_EUlS15_E_NS1_11comp_targetILNS1_3genE10ELNS1_11target_archE1200ELNS1_3gpuE4ELNS1_3repE0EEENS1_30default_config_static_selectorELNS0_4arch9wavefront6targetE1EEEvT1_.kd
    .uniform_work_group_size: 1
    .uses_dynamic_stack: false
    .vgpr_count:     0
    .vgpr_spill_count: 0
    .wavefront_size: 64
  - .agpr_count:     0
    .args:
      - .offset:         0
        .size:           112
        .value_kind:     by_value
    .group_segment_fixed_size: 0
    .kernarg_segment_align: 8
    .kernarg_segment_size: 112
    .language:       OpenCL C
    .language_version:
      - 2
      - 0
    .max_flat_workgroup_size: 384
    .name:           _ZN7rocprim17ROCPRIM_400000_NS6detail17trampoline_kernelINS0_14default_configENS1_25partition_config_selectorILNS1_17partition_subalgoE9EiibEEZZNS1_14partition_implILS5_9ELb0ES3_jPKiN6thrust23THRUST_200600_302600_NS17counting_iteratorIiNSB_11use_defaultESD_SD_EEPNS0_10empty_typeENS0_5tupleIJPiSF_EEENSH_IJSI_SG_EEENS0_18inequality_wrapperIN6hipcub16HIPCUB_304000_NS8EqualityEEEPlJSF_EEE10hipError_tPvRmT3_T4_T5_T6_T7_T9_mT8_P12ihipStream_tbDpT10_ENKUlT_T0_E_clISt17integral_constantIbLb1EES19_IbLb0EEEEDaS15_S16_EUlS15_E_NS1_11comp_targetILNS1_3genE9ELNS1_11target_archE1100ELNS1_3gpuE3ELNS1_3repE0EEENS1_30default_config_static_selectorELNS0_4arch9wavefront6targetE1EEEvT1_
    .private_segment_fixed_size: 0
    .sgpr_count:     6
    .sgpr_spill_count: 0
    .symbol:         _ZN7rocprim17ROCPRIM_400000_NS6detail17trampoline_kernelINS0_14default_configENS1_25partition_config_selectorILNS1_17partition_subalgoE9EiibEEZZNS1_14partition_implILS5_9ELb0ES3_jPKiN6thrust23THRUST_200600_302600_NS17counting_iteratorIiNSB_11use_defaultESD_SD_EEPNS0_10empty_typeENS0_5tupleIJPiSF_EEENSH_IJSI_SG_EEENS0_18inequality_wrapperIN6hipcub16HIPCUB_304000_NS8EqualityEEEPlJSF_EEE10hipError_tPvRmT3_T4_T5_T6_T7_T9_mT8_P12ihipStream_tbDpT10_ENKUlT_T0_E_clISt17integral_constantIbLb1EES19_IbLb0EEEEDaS15_S16_EUlS15_E_NS1_11comp_targetILNS1_3genE9ELNS1_11target_archE1100ELNS1_3gpuE3ELNS1_3repE0EEENS1_30default_config_static_selectorELNS0_4arch9wavefront6targetE1EEEvT1_.kd
    .uniform_work_group_size: 1
    .uses_dynamic_stack: false
    .vgpr_count:     0
    .vgpr_spill_count: 0
    .wavefront_size: 64
  - .agpr_count:     0
    .args:
      - .offset:         0
        .size:           112
        .value_kind:     by_value
    .group_segment_fixed_size: 0
    .kernarg_segment_align: 8
    .kernarg_segment_size: 112
    .language:       OpenCL C
    .language_version:
      - 2
      - 0
    .max_flat_workgroup_size: 512
    .name:           _ZN7rocprim17ROCPRIM_400000_NS6detail17trampoline_kernelINS0_14default_configENS1_25partition_config_selectorILNS1_17partition_subalgoE9EiibEEZZNS1_14partition_implILS5_9ELb0ES3_jPKiN6thrust23THRUST_200600_302600_NS17counting_iteratorIiNSB_11use_defaultESD_SD_EEPNS0_10empty_typeENS0_5tupleIJPiSF_EEENSH_IJSI_SG_EEENS0_18inequality_wrapperIN6hipcub16HIPCUB_304000_NS8EqualityEEEPlJSF_EEE10hipError_tPvRmT3_T4_T5_T6_T7_T9_mT8_P12ihipStream_tbDpT10_ENKUlT_T0_E_clISt17integral_constantIbLb1EES19_IbLb0EEEEDaS15_S16_EUlS15_E_NS1_11comp_targetILNS1_3genE8ELNS1_11target_archE1030ELNS1_3gpuE2ELNS1_3repE0EEENS1_30default_config_static_selectorELNS0_4arch9wavefront6targetE1EEEvT1_
    .private_segment_fixed_size: 0
    .sgpr_count:     6
    .sgpr_spill_count: 0
    .symbol:         _ZN7rocprim17ROCPRIM_400000_NS6detail17trampoline_kernelINS0_14default_configENS1_25partition_config_selectorILNS1_17partition_subalgoE9EiibEEZZNS1_14partition_implILS5_9ELb0ES3_jPKiN6thrust23THRUST_200600_302600_NS17counting_iteratorIiNSB_11use_defaultESD_SD_EEPNS0_10empty_typeENS0_5tupleIJPiSF_EEENSH_IJSI_SG_EEENS0_18inequality_wrapperIN6hipcub16HIPCUB_304000_NS8EqualityEEEPlJSF_EEE10hipError_tPvRmT3_T4_T5_T6_T7_T9_mT8_P12ihipStream_tbDpT10_ENKUlT_T0_E_clISt17integral_constantIbLb1EES19_IbLb0EEEEDaS15_S16_EUlS15_E_NS1_11comp_targetILNS1_3genE8ELNS1_11target_archE1030ELNS1_3gpuE2ELNS1_3repE0EEENS1_30default_config_static_selectorELNS0_4arch9wavefront6targetE1EEEvT1_.kd
    .uniform_work_group_size: 1
    .uses_dynamic_stack: false
    .vgpr_count:     0
    .vgpr_spill_count: 0
    .wavefront_size: 64
  - .agpr_count:     0
    .args:
      - .address_space:  global
        .offset:         0
        .size:           8
        .value_kind:     global_buffer
      - .offset:         8
        .size:           4
        .value_kind:     by_value
      - .address_space:  global
        .offset:         16
        .size:           8
        .value_kind:     global_buffer
      - .offset:         24
        .size:           4
        .value_kind:     by_value
      - .address_space:  global
        .offset:         32
        .size:           8
        .value_kind:     global_buffer
      - .offset:         40
        .size:           4
        .value_kind:     hidden_block_count_x
      - .offset:         44
        .size:           4
        .value_kind:     hidden_block_count_y
      - .offset:         48
        .size:           4
        .value_kind:     hidden_block_count_z
      - .offset:         52
        .size:           2
        .value_kind:     hidden_group_size_x
      - .offset:         54
        .size:           2
        .value_kind:     hidden_group_size_y
      - .offset:         56
        .size:           2
        .value_kind:     hidden_group_size_z
      - .offset:         58
        .size:           2
        .value_kind:     hidden_remainder_x
      - .offset:         60
        .size:           2
        .value_kind:     hidden_remainder_y
      - .offset:         62
        .size:           2
        .value_kind:     hidden_remainder_z
      - .offset:         80
        .size:           8
        .value_kind:     hidden_global_offset_x
      - .offset:         88
        .size:           8
        .value_kind:     hidden_global_offset_y
      - .offset:         96
        .size:           8
        .value_kind:     hidden_global_offset_z
      - .offset:         104
        .size:           2
        .value_kind:     hidden_grid_dims
    .group_segment_fixed_size: 0
    .kernarg_segment_align: 8
    .kernarg_segment_size: 296
    .language:       OpenCL C
    .language_version:
      - 2
      - 0
    .max_flat_workgroup_size: 256
    .name:           _ZN7rocprim17ROCPRIM_400000_NS6detail31init_lookback_scan_state_kernelINS1_19lookback_scan_stateIjLb0ELb1EEENS1_16block_id_wrapperIjLb1EEEEEvT_jT0_jPNS7_10value_typeE
    .private_segment_fixed_size: 0
    .sgpr_count:     17
    .sgpr_spill_count: 0
    .symbol:         _ZN7rocprim17ROCPRIM_400000_NS6detail31init_lookback_scan_state_kernelINS1_19lookback_scan_stateIjLb0ELb1EEENS1_16block_id_wrapperIjLb1EEEEEvT_jT0_jPNS7_10value_typeE.kd
    .uniform_work_group_size: 1
    .uses_dynamic_stack: false
    .vgpr_count:     6
    .vgpr_spill_count: 0
    .wavefront_size: 64
  - .agpr_count:     0
    .args:
      - .offset:         0
        .size:           128
        .value_kind:     by_value
    .group_segment_fixed_size: 0
    .kernarg_segment_align: 8
    .kernarg_segment_size: 128
    .language:       OpenCL C
    .language_version:
      - 2
      - 0
    .max_flat_workgroup_size: 256
    .name:           _ZN7rocprim17ROCPRIM_400000_NS6detail17trampoline_kernelINS0_14default_configENS1_25partition_config_selectorILNS1_17partition_subalgoE9EiibEEZZNS1_14partition_implILS5_9ELb0ES3_jPKiN6thrust23THRUST_200600_302600_NS17counting_iteratorIiNSB_11use_defaultESD_SD_EEPNS0_10empty_typeENS0_5tupleIJPiSF_EEENSH_IJSI_SG_EEENS0_18inequality_wrapperIN6hipcub16HIPCUB_304000_NS8EqualityEEEPlJSF_EEE10hipError_tPvRmT3_T4_T5_T6_T7_T9_mT8_P12ihipStream_tbDpT10_ENKUlT_T0_E_clISt17integral_constantIbLb0EES19_IbLb1EEEEDaS15_S16_EUlS15_E_NS1_11comp_targetILNS1_3genE0ELNS1_11target_archE4294967295ELNS1_3gpuE0ELNS1_3repE0EEENS1_30default_config_static_selectorELNS0_4arch9wavefront6targetE1EEEvT1_
    .private_segment_fixed_size: 0
    .sgpr_count:     6
    .sgpr_spill_count: 0
    .symbol:         _ZN7rocprim17ROCPRIM_400000_NS6detail17trampoline_kernelINS0_14default_configENS1_25partition_config_selectorILNS1_17partition_subalgoE9EiibEEZZNS1_14partition_implILS5_9ELb0ES3_jPKiN6thrust23THRUST_200600_302600_NS17counting_iteratorIiNSB_11use_defaultESD_SD_EEPNS0_10empty_typeENS0_5tupleIJPiSF_EEENSH_IJSI_SG_EEENS0_18inequality_wrapperIN6hipcub16HIPCUB_304000_NS8EqualityEEEPlJSF_EEE10hipError_tPvRmT3_T4_T5_T6_T7_T9_mT8_P12ihipStream_tbDpT10_ENKUlT_T0_E_clISt17integral_constantIbLb0EES19_IbLb1EEEEDaS15_S16_EUlS15_E_NS1_11comp_targetILNS1_3genE0ELNS1_11target_archE4294967295ELNS1_3gpuE0ELNS1_3repE0EEENS1_30default_config_static_selectorELNS0_4arch9wavefront6targetE1EEEvT1_.kd
    .uniform_work_group_size: 1
    .uses_dynamic_stack: false
    .vgpr_count:     0
    .vgpr_spill_count: 0
    .wavefront_size: 64
  - .agpr_count:     0
    .args:
      - .offset:         0
        .size:           128
        .value_kind:     by_value
    .group_segment_fixed_size: 30728
    .kernarg_segment_align: 8
    .kernarg_segment_size: 128
    .language:       OpenCL C
    .language_version:
      - 2
      - 0
    .max_flat_workgroup_size: 512
    .name:           _ZN7rocprim17ROCPRIM_400000_NS6detail17trampoline_kernelINS0_14default_configENS1_25partition_config_selectorILNS1_17partition_subalgoE9EiibEEZZNS1_14partition_implILS5_9ELb0ES3_jPKiN6thrust23THRUST_200600_302600_NS17counting_iteratorIiNSB_11use_defaultESD_SD_EEPNS0_10empty_typeENS0_5tupleIJPiSF_EEENSH_IJSI_SG_EEENS0_18inequality_wrapperIN6hipcub16HIPCUB_304000_NS8EqualityEEEPlJSF_EEE10hipError_tPvRmT3_T4_T5_T6_T7_T9_mT8_P12ihipStream_tbDpT10_ENKUlT_T0_E_clISt17integral_constantIbLb0EES19_IbLb1EEEEDaS15_S16_EUlS15_E_NS1_11comp_targetILNS1_3genE5ELNS1_11target_archE942ELNS1_3gpuE9ELNS1_3repE0EEENS1_30default_config_static_selectorELNS0_4arch9wavefront6targetE1EEEvT1_
    .private_segment_fixed_size: 0
    .sgpr_count:     59
    .sgpr_spill_count: 0
    .symbol:         _ZN7rocprim17ROCPRIM_400000_NS6detail17trampoline_kernelINS0_14default_configENS1_25partition_config_selectorILNS1_17partition_subalgoE9EiibEEZZNS1_14partition_implILS5_9ELb0ES3_jPKiN6thrust23THRUST_200600_302600_NS17counting_iteratorIiNSB_11use_defaultESD_SD_EEPNS0_10empty_typeENS0_5tupleIJPiSF_EEENSH_IJSI_SG_EEENS0_18inequality_wrapperIN6hipcub16HIPCUB_304000_NS8EqualityEEEPlJSF_EEE10hipError_tPvRmT3_T4_T5_T6_T7_T9_mT8_P12ihipStream_tbDpT10_ENKUlT_T0_E_clISt17integral_constantIbLb0EES19_IbLb1EEEEDaS15_S16_EUlS15_E_NS1_11comp_targetILNS1_3genE5ELNS1_11target_archE942ELNS1_3gpuE9ELNS1_3repE0EEENS1_30default_config_static_selectorELNS0_4arch9wavefront6targetE1EEEvT1_.kd
    .uniform_work_group_size: 1
    .uses_dynamic_stack: false
    .vgpr_count:     102
    .vgpr_spill_count: 0
    .wavefront_size: 64
  - .agpr_count:     0
    .args:
      - .offset:         0
        .size:           128
        .value_kind:     by_value
    .group_segment_fixed_size: 0
    .kernarg_segment_align: 8
    .kernarg_segment_size: 128
    .language:       OpenCL C
    .language_version:
      - 2
      - 0
    .max_flat_workgroup_size: 192
    .name:           _ZN7rocprim17ROCPRIM_400000_NS6detail17trampoline_kernelINS0_14default_configENS1_25partition_config_selectorILNS1_17partition_subalgoE9EiibEEZZNS1_14partition_implILS5_9ELb0ES3_jPKiN6thrust23THRUST_200600_302600_NS17counting_iteratorIiNSB_11use_defaultESD_SD_EEPNS0_10empty_typeENS0_5tupleIJPiSF_EEENSH_IJSI_SG_EEENS0_18inequality_wrapperIN6hipcub16HIPCUB_304000_NS8EqualityEEEPlJSF_EEE10hipError_tPvRmT3_T4_T5_T6_T7_T9_mT8_P12ihipStream_tbDpT10_ENKUlT_T0_E_clISt17integral_constantIbLb0EES19_IbLb1EEEEDaS15_S16_EUlS15_E_NS1_11comp_targetILNS1_3genE4ELNS1_11target_archE910ELNS1_3gpuE8ELNS1_3repE0EEENS1_30default_config_static_selectorELNS0_4arch9wavefront6targetE1EEEvT1_
    .private_segment_fixed_size: 0
    .sgpr_count:     6
    .sgpr_spill_count: 0
    .symbol:         _ZN7rocprim17ROCPRIM_400000_NS6detail17trampoline_kernelINS0_14default_configENS1_25partition_config_selectorILNS1_17partition_subalgoE9EiibEEZZNS1_14partition_implILS5_9ELb0ES3_jPKiN6thrust23THRUST_200600_302600_NS17counting_iteratorIiNSB_11use_defaultESD_SD_EEPNS0_10empty_typeENS0_5tupleIJPiSF_EEENSH_IJSI_SG_EEENS0_18inequality_wrapperIN6hipcub16HIPCUB_304000_NS8EqualityEEEPlJSF_EEE10hipError_tPvRmT3_T4_T5_T6_T7_T9_mT8_P12ihipStream_tbDpT10_ENKUlT_T0_E_clISt17integral_constantIbLb0EES19_IbLb1EEEEDaS15_S16_EUlS15_E_NS1_11comp_targetILNS1_3genE4ELNS1_11target_archE910ELNS1_3gpuE8ELNS1_3repE0EEENS1_30default_config_static_selectorELNS0_4arch9wavefront6targetE1EEEvT1_.kd
    .uniform_work_group_size: 1
    .uses_dynamic_stack: false
    .vgpr_count:     0
    .vgpr_spill_count: 0
    .wavefront_size: 64
  - .agpr_count:     0
    .args:
      - .offset:         0
        .size:           128
        .value_kind:     by_value
    .group_segment_fixed_size: 0
    .kernarg_segment_align: 8
    .kernarg_segment_size: 128
    .language:       OpenCL C
    .language_version:
      - 2
      - 0
    .max_flat_workgroup_size: 256
    .name:           _ZN7rocprim17ROCPRIM_400000_NS6detail17trampoline_kernelINS0_14default_configENS1_25partition_config_selectorILNS1_17partition_subalgoE9EiibEEZZNS1_14partition_implILS5_9ELb0ES3_jPKiN6thrust23THRUST_200600_302600_NS17counting_iteratorIiNSB_11use_defaultESD_SD_EEPNS0_10empty_typeENS0_5tupleIJPiSF_EEENSH_IJSI_SG_EEENS0_18inequality_wrapperIN6hipcub16HIPCUB_304000_NS8EqualityEEEPlJSF_EEE10hipError_tPvRmT3_T4_T5_T6_T7_T9_mT8_P12ihipStream_tbDpT10_ENKUlT_T0_E_clISt17integral_constantIbLb0EES19_IbLb1EEEEDaS15_S16_EUlS15_E_NS1_11comp_targetILNS1_3genE3ELNS1_11target_archE908ELNS1_3gpuE7ELNS1_3repE0EEENS1_30default_config_static_selectorELNS0_4arch9wavefront6targetE1EEEvT1_
    .private_segment_fixed_size: 0
    .sgpr_count:     6
    .sgpr_spill_count: 0
    .symbol:         _ZN7rocprim17ROCPRIM_400000_NS6detail17trampoline_kernelINS0_14default_configENS1_25partition_config_selectorILNS1_17partition_subalgoE9EiibEEZZNS1_14partition_implILS5_9ELb0ES3_jPKiN6thrust23THRUST_200600_302600_NS17counting_iteratorIiNSB_11use_defaultESD_SD_EEPNS0_10empty_typeENS0_5tupleIJPiSF_EEENSH_IJSI_SG_EEENS0_18inequality_wrapperIN6hipcub16HIPCUB_304000_NS8EqualityEEEPlJSF_EEE10hipError_tPvRmT3_T4_T5_T6_T7_T9_mT8_P12ihipStream_tbDpT10_ENKUlT_T0_E_clISt17integral_constantIbLb0EES19_IbLb1EEEEDaS15_S16_EUlS15_E_NS1_11comp_targetILNS1_3genE3ELNS1_11target_archE908ELNS1_3gpuE7ELNS1_3repE0EEENS1_30default_config_static_selectorELNS0_4arch9wavefront6targetE1EEEvT1_.kd
    .uniform_work_group_size: 1
    .uses_dynamic_stack: false
    .vgpr_count:     0
    .vgpr_spill_count: 0
    .wavefront_size: 64
  - .agpr_count:     0
    .args:
      - .offset:         0
        .size:           128
        .value_kind:     by_value
    .group_segment_fixed_size: 0
    .kernarg_segment_align: 8
    .kernarg_segment_size: 128
    .language:       OpenCL C
    .language_version:
      - 2
      - 0
    .max_flat_workgroup_size: 256
    .name:           _ZN7rocprim17ROCPRIM_400000_NS6detail17trampoline_kernelINS0_14default_configENS1_25partition_config_selectorILNS1_17partition_subalgoE9EiibEEZZNS1_14partition_implILS5_9ELb0ES3_jPKiN6thrust23THRUST_200600_302600_NS17counting_iteratorIiNSB_11use_defaultESD_SD_EEPNS0_10empty_typeENS0_5tupleIJPiSF_EEENSH_IJSI_SG_EEENS0_18inequality_wrapperIN6hipcub16HIPCUB_304000_NS8EqualityEEEPlJSF_EEE10hipError_tPvRmT3_T4_T5_T6_T7_T9_mT8_P12ihipStream_tbDpT10_ENKUlT_T0_E_clISt17integral_constantIbLb0EES19_IbLb1EEEEDaS15_S16_EUlS15_E_NS1_11comp_targetILNS1_3genE2ELNS1_11target_archE906ELNS1_3gpuE6ELNS1_3repE0EEENS1_30default_config_static_selectorELNS0_4arch9wavefront6targetE1EEEvT1_
    .private_segment_fixed_size: 0
    .sgpr_count:     6
    .sgpr_spill_count: 0
    .symbol:         _ZN7rocprim17ROCPRIM_400000_NS6detail17trampoline_kernelINS0_14default_configENS1_25partition_config_selectorILNS1_17partition_subalgoE9EiibEEZZNS1_14partition_implILS5_9ELb0ES3_jPKiN6thrust23THRUST_200600_302600_NS17counting_iteratorIiNSB_11use_defaultESD_SD_EEPNS0_10empty_typeENS0_5tupleIJPiSF_EEENSH_IJSI_SG_EEENS0_18inequality_wrapperIN6hipcub16HIPCUB_304000_NS8EqualityEEEPlJSF_EEE10hipError_tPvRmT3_T4_T5_T6_T7_T9_mT8_P12ihipStream_tbDpT10_ENKUlT_T0_E_clISt17integral_constantIbLb0EES19_IbLb1EEEEDaS15_S16_EUlS15_E_NS1_11comp_targetILNS1_3genE2ELNS1_11target_archE906ELNS1_3gpuE6ELNS1_3repE0EEENS1_30default_config_static_selectorELNS0_4arch9wavefront6targetE1EEEvT1_.kd
    .uniform_work_group_size: 1
    .uses_dynamic_stack: false
    .vgpr_count:     0
    .vgpr_spill_count: 0
    .wavefront_size: 64
  - .agpr_count:     0
    .args:
      - .offset:         0
        .size:           128
        .value_kind:     by_value
    .group_segment_fixed_size: 0
    .kernarg_segment_align: 8
    .kernarg_segment_size: 128
    .language:       OpenCL C
    .language_version:
      - 2
      - 0
    .max_flat_workgroup_size: 384
    .name:           _ZN7rocprim17ROCPRIM_400000_NS6detail17trampoline_kernelINS0_14default_configENS1_25partition_config_selectorILNS1_17partition_subalgoE9EiibEEZZNS1_14partition_implILS5_9ELb0ES3_jPKiN6thrust23THRUST_200600_302600_NS17counting_iteratorIiNSB_11use_defaultESD_SD_EEPNS0_10empty_typeENS0_5tupleIJPiSF_EEENSH_IJSI_SG_EEENS0_18inequality_wrapperIN6hipcub16HIPCUB_304000_NS8EqualityEEEPlJSF_EEE10hipError_tPvRmT3_T4_T5_T6_T7_T9_mT8_P12ihipStream_tbDpT10_ENKUlT_T0_E_clISt17integral_constantIbLb0EES19_IbLb1EEEEDaS15_S16_EUlS15_E_NS1_11comp_targetILNS1_3genE10ELNS1_11target_archE1200ELNS1_3gpuE4ELNS1_3repE0EEENS1_30default_config_static_selectorELNS0_4arch9wavefront6targetE1EEEvT1_
    .private_segment_fixed_size: 0
    .sgpr_count:     6
    .sgpr_spill_count: 0
    .symbol:         _ZN7rocprim17ROCPRIM_400000_NS6detail17trampoline_kernelINS0_14default_configENS1_25partition_config_selectorILNS1_17partition_subalgoE9EiibEEZZNS1_14partition_implILS5_9ELb0ES3_jPKiN6thrust23THRUST_200600_302600_NS17counting_iteratorIiNSB_11use_defaultESD_SD_EEPNS0_10empty_typeENS0_5tupleIJPiSF_EEENSH_IJSI_SG_EEENS0_18inequality_wrapperIN6hipcub16HIPCUB_304000_NS8EqualityEEEPlJSF_EEE10hipError_tPvRmT3_T4_T5_T6_T7_T9_mT8_P12ihipStream_tbDpT10_ENKUlT_T0_E_clISt17integral_constantIbLb0EES19_IbLb1EEEEDaS15_S16_EUlS15_E_NS1_11comp_targetILNS1_3genE10ELNS1_11target_archE1200ELNS1_3gpuE4ELNS1_3repE0EEENS1_30default_config_static_selectorELNS0_4arch9wavefront6targetE1EEEvT1_.kd
    .uniform_work_group_size: 1
    .uses_dynamic_stack: false
    .vgpr_count:     0
    .vgpr_spill_count: 0
    .wavefront_size: 64
  - .agpr_count:     0
    .args:
      - .offset:         0
        .size:           128
        .value_kind:     by_value
    .group_segment_fixed_size: 0
    .kernarg_segment_align: 8
    .kernarg_segment_size: 128
    .language:       OpenCL C
    .language_version:
      - 2
      - 0
    .max_flat_workgroup_size: 384
    .name:           _ZN7rocprim17ROCPRIM_400000_NS6detail17trampoline_kernelINS0_14default_configENS1_25partition_config_selectorILNS1_17partition_subalgoE9EiibEEZZNS1_14partition_implILS5_9ELb0ES3_jPKiN6thrust23THRUST_200600_302600_NS17counting_iteratorIiNSB_11use_defaultESD_SD_EEPNS0_10empty_typeENS0_5tupleIJPiSF_EEENSH_IJSI_SG_EEENS0_18inequality_wrapperIN6hipcub16HIPCUB_304000_NS8EqualityEEEPlJSF_EEE10hipError_tPvRmT3_T4_T5_T6_T7_T9_mT8_P12ihipStream_tbDpT10_ENKUlT_T0_E_clISt17integral_constantIbLb0EES19_IbLb1EEEEDaS15_S16_EUlS15_E_NS1_11comp_targetILNS1_3genE9ELNS1_11target_archE1100ELNS1_3gpuE3ELNS1_3repE0EEENS1_30default_config_static_selectorELNS0_4arch9wavefront6targetE1EEEvT1_
    .private_segment_fixed_size: 0
    .sgpr_count:     6
    .sgpr_spill_count: 0
    .symbol:         _ZN7rocprim17ROCPRIM_400000_NS6detail17trampoline_kernelINS0_14default_configENS1_25partition_config_selectorILNS1_17partition_subalgoE9EiibEEZZNS1_14partition_implILS5_9ELb0ES3_jPKiN6thrust23THRUST_200600_302600_NS17counting_iteratorIiNSB_11use_defaultESD_SD_EEPNS0_10empty_typeENS0_5tupleIJPiSF_EEENSH_IJSI_SG_EEENS0_18inequality_wrapperIN6hipcub16HIPCUB_304000_NS8EqualityEEEPlJSF_EEE10hipError_tPvRmT3_T4_T5_T6_T7_T9_mT8_P12ihipStream_tbDpT10_ENKUlT_T0_E_clISt17integral_constantIbLb0EES19_IbLb1EEEEDaS15_S16_EUlS15_E_NS1_11comp_targetILNS1_3genE9ELNS1_11target_archE1100ELNS1_3gpuE3ELNS1_3repE0EEENS1_30default_config_static_selectorELNS0_4arch9wavefront6targetE1EEEvT1_.kd
    .uniform_work_group_size: 1
    .uses_dynamic_stack: false
    .vgpr_count:     0
    .vgpr_spill_count: 0
    .wavefront_size: 64
  - .agpr_count:     0
    .args:
      - .offset:         0
        .size:           128
        .value_kind:     by_value
    .group_segment_fixed_size: 0
    .kernarg_segment_align: 8
    .kernarg_segment_size: 128
    .language:       OpenCL C
    .language_version:
      - 2
      - 0
    .max_flat_workgroup_size: 512
    .name:           _ZN7rocprim17ROCPRIM_400000_NS6detail17trampoline_kernelINS0_14default_configENS1_25partition_config_selectorILNS1_17partition_subalgoE9EiibEEZZNS1_14partition_implILS5_9ELb0ES3_jPKiN6thrust23THRUST_200600_302600_NS17counting_iteratorIiNSB_11use_defaultESD_SD_EEPNS0_10empty_typeENS0_5tupleIJPiSF_EEENSH_IJSI_SG_EEENS0_18inequality_wrapperIN6hipcub16HIPCUB_304000_NS8EqualityEEEPlJSF_EEE10hipError_tPvRmT3_T4_T5_T6_T7_T9_mT8_P12ihipStream_tbDpT10_ENKUlT_T0_E_clISt17integral_constantIbLb0EES19_IbLb1EEEEDaS15_S16_EUlS15_E_NS1_11comp_targetILNS1_3genE8ELNS1_11target_archE1030ELNS1_3gpuE2ELNS1_3repE0EEENS1_30default_config_static_selectorELNS0_4arch9wavefront6targetE1EEEvT1_
    .private_segment_fixed_size: 0
    .sgpr_count:     6
    .sgpr_spill_count: 0
    .symbol:         _ZN7rocprim17ROCPRIM_400000_NS6detail17trampoline_kernelINS0_14default_configENS1_25partition_config_selectorILNS1_17partition_subalgoE9EiibEEZZNS1_14partition_implILS5_9ELb0ES3_jPKiN6thrust23THRUST_200600_302600_NS17counting_iteratorIiNSB_11use_defaultESD_SD_EEPNS0_10empty_typeENS0_5tupleIJPiSF_EEENSH_IJSI_SG_EEENS0_18inequality_wrapperIN6hipcub16HIPCUB_304000_NS8EqualityEEEPlJSF_EEE10hipError_tPvRmT3_T4_T5_T6_T7_T9_mT8_P12ihipStream_tbDpT10_ENKUlT_T0_E_clISt17integral_constantIbLb0EES19_IbLb1EEEEDaS15_S16_EUlS15_E_NS1_11comp_targetILNS1_3genE8ELNS1_11target_archE1030ELNS1_3gpuE2ELNS1_3repE0EEENS1_30default_config_static_selectorELNS0_4arch9wavefront6targetE1EEEvT1_.kd
    .uniform_work_group_size: 1
    .uses_dynamic_stack: false
    .vgpr_count:     0
    .vgpr_spill_count: 0
    .wavefront_size: 64
  - .agpr_count:     0
    .args:
      - .offset:         0
        .size:           112
        .value_kind:     by_value
    .group_segment_fixed_size: 0
    .kernarg_segment_align: 8
    .kernarg_segment_size: 112
    .language:       OpenCL C
    .language_version:
      - 2
      - 0
    .max_flat_workgroup_size: 128
    .name:           _ZN7rocprim17ROCPRIM_400000_NS6detail17trampoline_kernelINS0_14default_configENS1_25partition_config_selectorILNS1_17partition_subalgoE9EllbEEZZNS1_14partition_implILS5_9ELb0ES3_jPKlN6thrust23THRUST_200600_302600_NS17counting_iteratorIlNSB_11use_defaultESD_SD_EEPNS0_10empty_typeENS0_5tupleIJPlSF_EEENSH_IJSI_SG_EEENS0_18inequality_wrapperIN6hipcub16HIPCUB_304000_NS8EqualityEEESI_JSF_EEE10hipError_tPvRmT3_T4_T5_T6_T7_T9_mT8_P12ihipStream_tbDpT10_ENKUlT_T0_E_clISt17integral_constantIbLb0EES19_EEDaS14_S15_EUlS14_E_NS1_11comp_targetILNS1_3genE0ELNS1_11target_archE4294967295ELNS1_3gpuE0ELNS1_3repE0EEENS1_30default_config_static_selectorELNS0_4arch9wavefront6targetE1EEEvT1_
    .private_segment_fixed_size: 0
    .sgpr_count:     6
    .sgpr_spill_count: 0
    .symbol:         _ZN7rocprim17ROCPRIM_400000_NS6detail17trampoline_kernelINS0_14default_configENS1_25partition_config_selectorILNS1_17partition_subalgoE9EllbEEZZNS1_14partition_implILS5_9ELb0ES3_jPKlN6thrust23THRUST_200600_302600_NS17counting_iteratorIlNSB_11use_defaultESD_SD_EEPNS0_10empty_typeENS0_5tupleIJPlSF_EEENSH_IJSI_SG_EEENS0_18inequality_wrapperIN6hipcub16HIPCUB_304000_NS8EqualityEEESI_JSF_EEE10hipError_tPvRmT3_T4_T5_T6_T7_T9_mT8_P12ihipStream_tbDpT10_ENKUlT_T0_E_clISt17integral_constantIbLb0EES19_EEDaS14_S15_EUlS14_E_NS1_11comp_targetILNS1_3genE0ELNS1_11target_archE4294967295ELNS1_3gpuE0ELNS1_3repE0EEENS1_30default_config_static_selectorELNS0_4arch9wavefront6targetE1EEEvT1_.kd
    .uniform_work_group_size: 1
    .uses_dynamic_stack: false
    .vgpr_count:     0
    .vgpr_spill_count: 0
    .wavefront_size: 64
  - .agpr_count:     0
    .args:
      - .offset:         0
        .size:           112
        .value_kind:     by_value
    .group_segment_fixed_size: 28680
    .kernarg_segment_align: 8
    .kernarg_segment_size: 112
    .language:       OpenCL C
    .language_version:
      - 2
      - 0
    .max_flat_workgroup_size: 512
    .name:           _ZN7rocprim17ROCPRIM_400000_NS6detail17trampoline_kernelINS0_14default_configENS1_25partition_config_selectorILNS1_17partition_subalgoE9EllbEEZZNS1_14partition_implILS5_9ELb0ES3_jPKlN6thrust23THRUST_200600_302600_NS17counting_iteratorIlNSB_11use_defaultESD_SD_EEPNS0_10empty_typeENS0_5tupleIJPlSF_EEENSH_IJSI_SG_EEENS0_18inequality_wrapperIN6hipcub16HIPCUB_304000_NS8EqualityEEESI_JSF_EEE10hipError_tPvRmT3_T4_T5_T6_T7_T9_mT8_P12ihipStream_tbDpT10_ENKUlT_T0_E_clISt17integral_constantIbLb0EES19_EEDaS14_S15_EUlS14_E_NS1_11comp_targetILNS1_3genE5ELNS1_11target_archE942ELNS1_3gpuE9ELNS1_3repE0EEENS1_30default_config_static_selectorELNS0_4arch9wavefront6targetE1EEEvT1_
    .private_segment_fixed_size: 0
    .sgpr_count:     48
    .sgpr_spill_count: 0
    .symbol:         _ZN7rocprim17ROCPRIM_400000_NS6detail17trampoline_kernelINS0_14default_configENS1_25partition_config_selectorILNS1_17partition_subalgoE9EllbEEZZNS1_14partition_implILS5_9ELb0ES3_jPKlN6thrust23THRUST_200600_302600_NS17counting_iteratorIlNSB_11use_defaultESD_SD_EEPNS0_10empty_typeENS0_5tupleIJPlSF_EEENSH_IJSI_SG_EEENS0_18inequality_wrapperIN6hipcub16HIPCUB_304000_NS8EqualityEEESI_JSF_EEE10hipError_tPvRmT3_T4_T5_T6_T7_T9_mT8_P12ihipStream_tbDpT10_ENKUlT_T0_E_clISt17integral_constantIbLb0EES19_EEDaS14_S15_EUlS14_E_NS1_11comp_targetILNS1_3genE5ELNS1_11target_archE942ELNS1_3gpuE9ELNS1_3repE0EEENS1_30default_config_static_selectorELNS0_4arch9wavefront6targetE1EEEvT1_.kd
    .uniform_work_group_size: 1
    .uses_dynamic_stack: false
    .vgpr_count:     66
    .vgpr_spill_count: 0
    .wavefront_size: 64
  - .agpr_count:     0
    .args:
      - .offset:         0
        .size:           112
        .value_kind:     by_value
    .group_segment_fixed_size: 0
    .kernarg_segment_align: 8
    .kernarg_segment_size: 112
    .language:       OpenCL C
    .language_version:
      - 2
      - 0
    .max_flat_workgroup_size: 128
    .name:           _ZN7rocprim17ROCPRIM_400000_NS6detail17trampoline_kernelINS0_14default_configENS1_25partition_config_selectorILNS1_17partition_subalgoE9EllbEEZZNS1_14partition_implILS5_9ELb0ES3_jPKlN6thrust23THRUST_200600_302600_NS17counting_iteratorIlNSB_11use_defaultESD_SD_EEPNS0_10empty_typeENS0_5tupleIJPlSF_EEENSH_IJSI_SG_EEENS0_18inequality_wrapperIN6hipcub16HIPCUB_304000_NS8EqualityEEESI_JSF_EEE10hipError_tPvRmT3_T4_T5_T6_T7_T9_mT8_P12ihipStream_tbDpT10_ENKUlT_T0_E_clISt17integral_constantIbLb0EES19_EEDaS14_S15_EUlS14_E_NS1_11comp_targetILNS1_3genE4ELNS1_11target_archE910ELNS1_3gpuE8ELNS1_3repE0EEENS1_30default_config_static_selectorELNS0_4arch9wavefront6targetE1EEEvT1_
    .private_segment_fixed_size: 0
    .sgpr_count:     6
    .sgpr_spill_count: 0
    .symbol:         _ZN7rocprim17ROCPRIM_400000_NS6detail17trampoline_kernelINS0_14default_configENS1_25partition_config_selectorILNS1_17partition_subalgoE9EllbEEZZNS1_14partition_implILS5_9ELb0ES3_jPKlN6thrust23THRUST_200600_302600_NS17counting_iteratorIlNSB_11use_defaultESD_SD_EEPNS0_10empty_typeENS0_5tupleIJPlSF_EEENSH_IJSI_SG_EEENS0_18inequality_wrapperIN6hipcub16HIPCUB_304000_NS8EqualityEEESI_JSF_EEE10hipError_tPvRmT3_T4_T5_T6_T7_T9_mT8_P12ihipStream_tbDpT10_ENKUlT_T0_E_clISt17integral_constantIbLb0EES19_EEDaS14_S15_EUlS14_E_NS1_11comp_targetILNS1_3genE4ELNS1_11target_archE910ELNS1_3gpuE8ELNS1_3repE0EEENS1_30default_config_static_selectorELNS0_4arch9wavefront6targetE1EEEvT1_.kd
    .uniform_work_group_size: 1
    .uses_dynamic_stack: false
    .vgpr_count:     0
    .vgpr_spill_count: 0
    .wavefront_size: 64
  - .agpr_count:     0
    .args:
      - .offset:         0
        .size:           112
        .value_kind:     by_value
    .group_segment_fixed_size: 0
    .kernarg_segment_align: 8
    .kernarg_segment_size: 112
    .language:       OpenCL C
    .language_version:
      - 2
      - 0
    .max_flat_workgroup_size: 128
    .name:           _ZN7rocprim17ROCPRIM_400000_NS6detail17trampoline_kernelINS0_14default_configENS1_25partition_config_selectorILNS1_17partition_subalgoE9EllbEEZZNS1_14partition_implILS5_9ELb0ES3_jPKlN6thrust23THRUST_200600_302600_NS17counting_iteratorIlNSB_11use_defaultESD_SD_EEPNS0_10empty_typeENS0_5tupleIJPlSF_EEENSH_IJSI_SG_EEENS0_18inequality_wrapperIN6hipcub16HIPCUB_304000_NS8EqualityEEESI_JSF_EEE10hipError_tPvRmT3_T4_T5_T6_T7_T9_mT8_P12ihipStream_tbDpT10_ENKUlT_T0_E_clISt17integral_constantIbLb0EES19_EEDaS14_S15_EUlS14_E_NS1_11comp_targetILNS1_3genE3ELNS1_11target_archE908ELNS1_3gpuE7ELNS1_3repE0EEENS1_30default_config_static_selectorELNS0_4arch9wavefront6targetE1EEEvT1_
    .private_segment_fixed_size: 0
    .sgpr_count:     6
    .sgpr_spill_count: 0
    .symbol:         _ZN7rocprim17ROCPRIM_400000_NS6detail17trampoline_kernelINS0_14default_configENS1_25partition_config_selectorILNS1_17partition_subalgoE9EllbEEZZNS1_14partition_implILS5_9ELb0ES3_jPKlN6thrust23THRUST_200600_302600_NS17counting_iteratorIlNSB_11use_defaultESD_SD_EEPNS0_10empty_typeENS0_5tupleIJPlSF_EEENSH_IJSI_SG_EEENS0_18inequality_wrapperIN6hipcub16HIPCUB_304000_NS8EqualityEEESI_JSF_EEE10hipError_tPvRmT3_T4_T5_T6_T7_T9_mT8_P12ihipStream_tbDpT10_ENKUlT_T0_E_clISt17integral_constantIbLb0EES19_EEDaS14_S15_EUlS14_E_NS1_11comp_targetILNS1_3genE3ELNS1_11target_archE908ELNS1_3gpuE7ELNS1_3repE0EEENS1_30default_config_static_selectorELNS0_4arch9wavefront6targetE1EEEvT1_.kd
    .uniform_work_group_size: 1
    .uses_dynamic_stack: false
    .vgpr_count:     0
    .vgpr_spill_count: 0
    .wavefront_size: 64
  - .agpr_count:     0
    .args:
      - .offset:         0
        .size:           112
        .value_kind:     by_value
    .group_segment_fixed_size: 0
    .kernarg_segment_align: 8
    .kernarg_segment_size: 112
    .language:       OpenCL C
    .language_version:
      - 2
      - 0
    .max_flat_workgroup_size: 192
    .name:           _ZN7rocprim17ROCPRIM_400000_NS6detail17trampoline_kernelINS0_14default_configENS1_25partition_config_selectorILNS1_17partition_subalgoE9EllbEEZZNS1_14partition_implILS5_9ELb0ES3_jPKlN6thrust23THRUST_200600_302600_NS17counting_iteratorIlNSB_11use_defaultESD_SD_EEPNS0_10empty_typeENS0_5tupleIJPlSF_EEENSH_IJSI_SG_EEENS0_18inequality_wrapperIN6hipcub16HIPCUB_304000_NS8EqualityEEESI_JSF_EEE10hipError_tPvRmT3_T4_T5_T6_T7_T9_mT8_P12ihipStream_tbDpT10_ENKUlT_T0_E_clISt17integral_constantIbLb0EES19_EEDaS14_S15_EUlS14_E_NS1_11comp_targetILNS1_3genE2ELNS1_11target_archE906ELNS1_3gpuE6ELNS1_3repE0EEENS1_30default_config_static_selectorELNS0_4arch9wavefront6targetE1EEEvT1_
    .private_segment_fixed_size: 0
    .sgpr_count:     6
    .sgpr_spill_count: 0
    .symbol:         _ZN7rocprim17ROCPRIM_400000_NS6detail17trampoline_kernelINS0_14default_configENS1_25partition_config_selectorILNS1_17partition_subalgoE9EllbEEZZNS1_14partition_implILS5_9ELb0ES3_jPKlN6thrust23THRUST_200600_302600_NS17counting_iteratorIlNSB_11use_defaultESD_SD_EEPNS0_10empty_typeENS0_5tupleIJPlSF_EEENSH_IJSI_SG_EEENS0_18inequality_wrapperIN6hipcub16HIPCUB_304000_NS8EqualityEEESI_JSF_EEE10hipError_tPvRmT3_T4_T5_T6_T7_T9_mT8_P12ihipStream_tbDpT10_ENKUlT_T0_E_clISt17integral_constantIbLb0EES19_EEDaS14_S15_EUlS14_E_NS1_11comp_targetILNS1_3genE2ELNS1_11target_archE906ELNS1_3gpuE6ELNS1_3repE0EEENS1_30default_config_static_selectorELNS0_4arch9wavefront6targetE1EEEvT1_.kd
    .uniform_work_group_size: 1
    .uses_dynamic_stack: false
    .vgpr_count:     0
    .vgpr_spill_count: 0
    .wavefront_size: 64
  - .agpr_count:     0
    .args:
      - .offset:         0
        .size:           112
        .value_kind:     by_value
    .group_segment_fixed_size: 0
    .kernarg_segment_align: 8
    .kernarg_segment_size: 112
    .language:       OpenCL C
    .language_version:
      - 2
      - 0
    .max_flat_workgroup_size: 384
    .name:           _ZN7rocprim17ROCPRIM_400000_NS6detail17trampoline_kernelINS0_14default_configENS1_25partition_config_selectorILNS1_17partition_subalgoE9EllbEEZZNS1_14partition_implILS5_9ELb0ES3_jPKlN6thrust23THRUST_200600_302600_NS17counting_iteratorIlNSB_11use_defaultESD_SD_EEPNS0_10empty_typeENS0_5tupleIJPlSF_EEENSH_IJSI_SG_EEENS0_18inequality_wrapperIN6hipcub16HIPCUB_304000_NS8EqualityEEESI_JSF_EEE10hipError_tPvRmT3_T4_T5_T6_T7_T9_mT8_P12ihipStream_tbDpT10_ENKUlT_T0_E_clISt17integral_constantIbLb0EES19_EEDaS14_S15_EUlS14_E_NS1_11comp_targetILNS1_3genE10ELNS1_11target_archE1200ELNS1_3gpuE4ELNS1_3repE0EEENS1_30default_config_static_selectorELNS0_4arch9wavefront6targetE1EEEvT1_
    .private_segment_fixed_size: 0
    .sgpr_count:     6
    .sgpr_spill_count: 0
    .symbol:         _ZN7rocprim17ROCPRIM_400000_NS6detail17trampoline_kernelINS0_14default_configENS1_25partition_config_selectorILNS1_17partition_subalgoE9EllbEEZZNS1_14partition_implILS5_9ELb0ES3_jPKlN6thrust23THRUST_200600_302600_NS17counting_iteratorIlNSB_11use_defaultESD_SD_EEPNS0_10empty_typeENS0_5tupleIJPlSF_EEENSH_IJSI_SG_EEENS0_18inequality_wrapperIN6hipcub16HIPCUB_304000_NS8EqualityEEESI_JSF_EEE10hipError_tPvRmT3_T4_T5_T6_T7_T9_mT8_P12ihipStream_tbDpT10_ENKUlT_T0_E_clISt17integral_constantIbLb0EES19_EEDaS14_S15_EUlS14_E_NS1_11comp_targetILNS1_3genE10ELNS1_11target_archE1200ELNS1_3gpuE4ELNS1_3repE0EEENS1_30default_config_static_selectorELNS0_4arch9wavefront6targetE1EEEvT1_.kd
    .uniform_work_group_size: 1
    .uses_dynamic_stack: false
    .vgpr_count:     0
    .vgpr_spill_count: 0
    .wavefront_size: 64
  - .agpr_count:     0
    .args:
      - .offset:         0
        .size:           112
        .value_kind:     by_value
    .group_segment_fixed_size: 0
    .kernarg_segment_align: 8
    .kernarg_segment_size: 112
    .language:       OpenCL C
    .language_version:
      - 2
      - 0
    .max_flat_workgroup_size: 512
    .name:           _ZN7rocprim17ROCPRIM_400000_NS6detail17trampoline_kernelINS0_14default_configENS1_25partition_config_selectorILNS1_17partition_subalgoE9EllbEEZZNS1_14partition_implILS5_9ELb0ES3_jPKlN6thrust23THRUST_200600_302600_NS17counting_iteratorIlNSB_11use_defaultESD_SD_EEPNS0_10empty_typeENS0_5tupleIJPlSF_EEENSH_IJSI_SG_EEENS0_18inequality_wrapperIN6hipcub16HIPCUB_304000_NS8EqualityEEESI_JSF_EEE10hipError_tPvRmT3_T4_T5_T6_T7_T9_mT8_P12ihipStream_tbDpT10_ENKUlT_T0_E_clISt17integral_constantIbLb0EES19_EEDaS14_S15_EUlS14_E_NS1_11comp_targetILNS1_3genE9ELNS1_11target_archE1100ELNS1_3gpuE3ELNS1_3repE0EEENS1_30default_config_static_selectorELNS0_4arch9wavefront6targetE1EEEvT1_
    .private_segment_fixed_size: 0
    .sgpr_count:     6
    .sgpr_spill_count: 0
    .symbol:         _ZN7rocprim17ROCPRIM_400000_NS6detail17trampoline_kernelINS0_14default_configENS1_25partition_config_selectorILNS1_17partition_subalgoE9EllbEEZZNS1_14partition_implILS5_9ELb0ES3_jPKlN6thrust23THRUST_200600_302600_NS17counting_iteratorIlNSB_11use_defaultESD_SD_EEPNS0_10empty_typeENS0_5tupleIJPlSF_EEENSH_IJSI_SG_EEENS0_18inequality_wrapperIN6hipcub16HIPCUB_304000_NS8EqualityEEESI_JSF_EEE10hipError_tPvRmT3_T4_T5_T6_T7_T9_mT8_P12ihipStream_tbDpT10_ENKUlT_T0_E_clISt17integral_constantIbLb0EES19_EEDaS14_S15_EUlS14_E_NS1_11comp_targetILNS1_3genE9ELNS1_11target_archE1100ELNS1_3gpuE3ELNS1_3repE0EEENS1_30default_config_static_selectorELNS0_4arch9wavefront6targetE1EEEvT1_.kd
    .uniform_work_group_size: 1
    .uses_dynamic_stack: false
    .vgpr_count:     0
    .vgpr_spill_count: 0
    .wavefront_size: 64
  - .agpr_count:     0
    .args:
      - .offset:         0
        .size:           112
        .value_kind:     by_value
    .group_segment_fixed_size: 0
    .kernarg_segment_align: 8
    .kernarg_segment_size: 112
    .language:       OpenCL C
    .language_version:
      - 2
      - 0
    .max_flat_workgroup_size: 512
    .name:           _ZN7rocprim17ROCPRIM_400000_NS6detail17trampoline_kernelINS0_14default_configENS1_25partition_config_selectorILNS1_17partition_subalgoE9EllbEEZZNS1_14partition_implILS5_9ELb0ES3_jPKlN6thrust23THRUST_200600_302600_NS17counting_iteratorIlNSB_11use_defaultESD_SD_EEPNS0_10empty_typeENS0_5tupleIJPlSF_EEENSH_IJSI_SG_EEENS0_18inequality_wrapperIN6hipcub16HIPCUB_304000_NS8EqualityEEESI_JSF_EEE10hipError_tPvRmT3_T4_T5_T6_T7_T9_mT8_P12ihipStream_tbDpT10_ENKUlT_T0_E_clISt17integral_constantIbLb0EES19_EEDaS14_S15_EUlS14_E_NS1_11comp_targetILNS1_3genE8ELNS1_11target_archE1030ELNS1_3gpuE2ELNS1_3repE0EEENS1_30default_config_static_selectorELNS0_4arch9wavefront6targetE1EEEvT1_
    .private_segment_fixed_size: 0
    .sgpr_count:     6
    .sgpr_spill_count: 0
    .symbol:         _ZN7rocprim17ROCPRIM_400000_NS6detail17trampoline_kernelINS0_14default_configENS1_25partition_config_selectorILNS1_17partition_subalgoE9EllbEEZZNS1_14partition_implILS5_9ELb0ES3_jPKlN6thrust23THRUST_200600_302600_NS17counting_iteratorIlNSB_11use_defaultESD_SD_EEPNS0_10empty_typeENS0_5tupleIJPlSF_EEENSH_IJSI_SG_EEENS0_18inequality_wrapperIN6hipcub16HIPCUB_304000_NS8EqualityEEESI_JSF_EEE10hipError_tPvRmT3_T4_T5_T6_T7_T9_mT8_P12ihipStream_tbDpT10_ENKUlT_T0_E_clISt17integral_constantIbLb0EES19_EEDaS14_S15_EUlS14_E_NS1_11comp_targetILNS1_3genE8ELNS1_11target_archE1030ELNS1_3gpuE2ELNS1_3repE0EEENS1_30default_config_static_selectorELNS0_4arch9wavefront6targetE1EEEvT1_.kd
    .uniform_work_group_size: 1
    .uses_dynamic_stack: false
    .vgpr_count:     0
    .vgpr_spill_count: 0
    .wavefront_size: 64
  - .agpr_count:     0
    .args:
      - .offset:         0
        .size:           128
        .value_kind:     by_value
    .group_segment_fixed_size: 0
    .kernarg_segment_align: 8
    .kernarg_segment_size: 128
    .language:       OpenCL C
    .language_version:
      - 2
      - 0
    .max_flat_workgroup_size: 128
    .name:           _ZN7rocprim17ROCPRIM_400000_NS6detail17trampoline_kernelINS0_14default_configENS1_25partition_config_selectorILNS1_17partition_subalgoE9EllbEEZZNS1_14partition_implILS5_9ELb0ES3_jPKlN6thrust23THRUST_200600_302600_NS17counting_iteratorIlNSB_11use_defaultESD_SD_EEPNS0_10empty_typeENS0_5tupleIJPlSF_EEENSH_IJSI_SG_EEENS0_18inequality_wrapperIN6hipcub16HIPCUB_304000_NS8EqualityEEESI_JSF_EEE10hipError_tPvRmT3_T4_T5_T6_T7_T9_mT8_P12ihipStream_tbDpT10_ENKUlT_T0_E_clISt17integral_constantIbLb1EES19_EEDaS14_S15_EUlS14_E_NS1_11comp_targetILNS1_3genE0ELNS1_11target_archE4294967295ELNS1_3gpuE0ELNS1_3repE0EEENS1_30default_config_static_selectorELNS0_4arch9wavefront6targetE1EEEvT1_
    .private_segment_fixed_size: 0
    .sgpr_count:     6
    .sgpr_spill_count: 0
    .symbol:         _ZN7rocprim17ROCPRIM_400000_NS6detail17trampoline_kernelINS0_14default_configENS1_25partition_config_selectorILNS1_17partition_subalgoE9EllbEEZZNS1_14partition_implILS5_9ELb0ES3_jPKlN6thrust23THRUST_200600_302600_NS17counting_iteratorIlNSB_11use_defaultESD_SD_EEPNS0_10empty_typeENS0_5tupleIJPlSF_EEENSH_IJSI_SG_EEENS0_18inequality_wrapperIN6hipcub16HIPCUB_304000_NS8EqualityEEESI_JSF_EEE10hipError_tPvRmT3_T4_T5_T6_T7_T9_mT8_P12ihipStream_tbDpT10_ENKUlT_T0_E_clISt17integral_constantIbLb1EES19_EEDaS14_S15_EUlS14_E_NS1_11comp_targetILNS1_3genE0ELNS1_11target_archE4294967295ELNS1_3gpuE0ELNS1_3repE0EEENS1_30default_config_static_selectorELNS0_4arch9wavefront6targetE1EEEvT1_.kd
    .uniform_work_group_size: 1
    .uses_dynamic_stack: false
    .vgpr_count:     0
    .vgpr_spill_count: 0
    .wavefront_size: 64
  - .agpr_count:     0
    .args:
      - .offset:         0
        .size:           128
        .value_kind:     by_value
    .group_segment_fixed_size: 28680
    .kernarg_segment_align: 8
    .kernarg_segment_size: 128
    .language:       OpenCL C
    .language_version:
      - 2
      - 0
    .max_flat_workgroup_size: 512
    .name:           _ZN7rocprim17ROCPRIM_400000_NS6detail17trampoline_kernelINS0_14default_configENS1_25partition_config_selectorILNS1_17partition_subalgoE9EllbEEZZNS1_14partition_implILS5_9ELb0ES3_jPKlN6thrust23THRUST_200600_302600_NS17counting_iteratorIlNSB_11use_defaultESD_SD_EEPNS0_10empty_typeENS0_5tupleIJPlSF_EEENSH_IJSI_SG_EEENS0_18inequality_wrapperIN6hipcub16HIPCUB_304000_NS8EqualityEEESI_JSF_EEE10hipError_tPvRmT3_T4_T5_T6_T7_T9_mT8_P12ihipStream_tbDpT10_ENKUlT_T0_E_clISt17integral_constantIbLb1EES19_EEDaS14_S15_EUlS14_E_NS1_11comp_targetILNS1_3genE5ELNS1_11target_archE942ELNS1_3gpuE9ELNS1_3repE0EEENS1_30default_config_static_selectorELNS0_4arch9wavefront6targetE1EEEvT1_
    .private_segment_fixed_size: 0
    .sgpr_count:     50
    .sgpr_spill_count: 0
    .symbol:         _ZN7rocprim17ROCPRIM_400000_NS6detail17trampoline_kernelINS0_14default_configENS1_25partition_config_selectorILNS1_17partition_subalgoE9EllbEEZZNS1_14partition_implILS5_9ELb0ES3_jPKlN6thrust23THRUST_200600_302600_NS17counting_iteratorIlNSB_11use_defaultESD_SD_EEPNS0_10empty_typeENS0_5tupleIJPlSF_EEENSH_IJSI_SG_EEENS0_18inequality_wrapperIN6hipcub16HIPCUB_304000_NS8EqualityEEESI_JSF_EEE10hipError_tPvRmT3_T4_T5_T6_T7_T9_mT8_P12ihipStream_tbDpT10_ENKUlT_T0_E_clISt17integral_constantIbLb1EES19_EEDaS14_S15_EUlS14_E_NS1_11comp_targetILNS1_3genE5ELNS1_11target_archE942ELNS1_3gpuE9ELNS1_3repE0EEENS1_30default_config_static_selectorELNS0_4arch9wavefront6targetE1EEEvT1_.kd
    .uniform_work_group_size: 1
    .uses_dynamic_stack: false
    .vgpr_count:     66
    .vgpr_spill_count: 0
    .wavefront_size: 64
  - .agpr_count:     0
    .args:
      - .offset:         0
        .size:           128
        .value_kind:     by_value
    .group_segment_fixed_size: 0
    .kernarg_segment_align: 8
    .kernarg_segment_size: 128
    .language:       OpenCL C
    .language_version:
      - 2
      - 0
    .max_flat_workgroup_size: 128
    .name:           _ZN7rocprim17ROCPRIM_400000_NS6detail17trampoline_kernelINS0_14default_configENS1_25partition_config_selectorILNS1_17partition_subalgoE9EllbEEZZNS1_14partition_implILS5_9ELb0ES3_jPKlN6thrust23THRUST_200600_302600_NS17counting_iteratorIlNSB_11use_defaultESD_SD_EEPNS0_10empty_typeENS0_5tupleIJPlSF_EEENSH_IJSI_SG_EEENS0_18inequality_wrapperIN6hipcub16HIPCUB_304000_NS8EqualityEEESI_JSF_EEE10hipError_tPvRmT3_T4_T5_T6_T7_T9_mT8_P12ihipStream_tbDpT10_ENKUlT_T0_E_clISt17integral_constantIbLb1EES19_EEDaS14_S15_EUlS14_E_NS1_11comp_targetILNS1_3genE4ELNS1_11target_archE910ELNS1_3gpuE8ELNS1_3repE0EEENS1_30default_config_static_selectorELNS0_4arch9wavefront6targetE1EEEvT1_
    .private_segment_fixed_size: 0
    .sgpr_count:     6
    .sgpr_spill_count: 0
    .symbol:         _ZN7rocprim17ROCPRIM_400000_NS6detail17trampoline_kernelINS0_14default_configENS1_25partition_config_selectorILNS1_17partition_subalgoE9EllbEEZZNS1_14partition_implILS5_9ELb0ES3_jPKlN6thrust23THRUST_200600_302600_NS17counting_iteratorIlNSB_11use_defaultESD_SD_EEPNS0_10empty_typeENS0_5tupleIJPlSF_EEENSH_IJSI_SG_EEENS0_18inequality_wrapperIN6hipcub16HIPCUB_304000_NS8EqualityEEESI_JSF_EEE10hipError_tPvRmT3_T4_T5_T6_T7_T9_mT8_P12ihipStream_tbDpT10_ENKUlT_T0_E_clISt17integral_constantIbLb1EES19_EEDaS14_S15_EUlS14_E_NS1_11comp_targetILNS1_3genE4ELNS1_11target_archE910ELNS1_3gpuE8ELNS1_3repE0EEENS1_30default_config_static_selectorELNS0_4arch9wavefront6targetE1EEEvT1_.kd
    .uniform_work_group_size: 1
    .uses_dynamic_stack: false
    .vgpr_count:     0
    .vgpr_spill_count: 0
    .wavefront_size: 64
  - .agpr_count:     0
    .args:
      - .offset:         0
        .size:           128
        .value_kind:     by_value
    .group_segment_fixed_size: 0
    .kernarg_segment_align: 8
    .kernarg_segment_size: 128
    .language:       OpenCL C
    .language_version:
      - 2
      - 0
    .max_flat_workgroup_size: 128
    .name:           _ZN7rocprim17ROCPRIM_400000_NS6detail17trampoline_kernelINS0_14default_configENS1_25partition_config_selectorILNS1_17partition_subalgoE9EllbEEZZNS1_14partition_implILS5_9ELb0ES3_jPKlN6thrust23THRUST_200600_302600_NS17counting_iteratorIlNSB_11use_defaultESD_SD_EEPNS0_10empty_typeENS0_5tupleIJPlSF_EEENSH_IJSI_SG_EEENS0_18inequality_wrapperIN6hipcub16HIPCUB_304000_NS8EqualityEEESI_JSF_EEE10hipError_tPvRmT3_T4_T5_T6_T7_T9_mT8_P12ihipStream_tbDpT10_ENKUlT_T0_E_clISt17integral_constantIbLb1EES19_EEDaS14_S15_EUlS14_E_NS1_11comp_targetILNS1_3genE3ELNS1_11target_archE908ELNS1_3gpuE7ELNS1_3repE0EEENS1_30default_config_static_selectorELNS0_4arch9wavefront6targetE1EEEvT1_
    .private_segment_fixed_size: 0
    .sgpr_count:     6
    .sgpr_spill_count: 0
    .symbol:         _ZN7rocprim17ROCPRIM_400000_NS6detail17trampoline_kernelINS0_14default_configENS1_25partition_config_selectorILNS1_17partition_subalgoE9EllbEEZZNS1_14partition_implILS5_9ELb0ES3_jPKlN6thrust23THRUST_200600_302600_NS17counting_iteratorIlNSB_11use_defaultESD_SD_EEPNS0_10empty_typeENS0_5tupleIJPlSF_EEENSH_IJSI_SG_EEENS0_18inequality_wrapperIN6hipcub16HIPCUB_304000_NS8EqualityEEESI_JSF_EEE10hipError_tPvRmT3_T4_T5_T6_T7_T9_mT8_P12ihipStream_tbDpT10_ENKUlT_T0_E_clISt17integral_constantIbLb1EES19_EEDaS14_S15_EUlS14_E_NS1_11comp_targetILNS1_3genE3ELNS1_11target_archE908ELNS1_3gpuE7ELNS1_3repE0EEENS1_30default_config_static_selectorELNS0_4arch9wavefront6targetE1EEEvT1_.kd
    .uniform_work_group_size: 1
    .uses_dynamic_stack: false
    .vgpr_count:     0
    .vgpr_spill_count: 0
    .wavefront_size: 64
  - .agpr_count:     0
    .args:
      - .offset:         0
        .size:           128
        .value_kind:     by_value
    .group_segment_fixed_size: 0
    .kernarg_segment_align: 8
    .kernarg_segment_size: 128
    .language:       OpenCL C
    .language_version:
      - 2
      - 0
    .max_flat_workgroup_size: 192
    .name:           _ZN7rocprim17ROCPRIM_400000_NS6detail17trampoline_kernelINS0_14default_configENS1_25partition_config_selectorILNS1_17partition_subalgoE9EllbEEZZNS1_14partition_implILS5_9ELb0ES3_jPKlN6thrust23THRUST_200600_302600_NS17counting_iteratorIlNSB_11use_defaultESD_SD_EEPNS0_10empty_typeENS0_5tupleIJPlSF_EEENSH_IJSI_SG_EEENS0_18inequality_wrapperIN6hipcub16HIPCUB_304000_NS8EqualityEEESI_JSF_EEE10hipError_tPvRmT3_T4_T5_T6_T7_T9_mT8_P12ihipStream_tbDpT10_ENKUlT_T0_E_clISt17integral_constantIbLb1EES19_EEDaS14_S15_EUlS14_E_NS1_11comp_targetILNS1_3genE2ELNS1_11target_archE906ELNS1_3gpuE6ELNS1_3repE0EEENS1_30default_config_static_selectorELNS0_4arch9wavefront6targetE1EEEvT1_
    .private_segment_fixed_size: 0
    .sgpr_count:     6
    .sgpr_spill_count: 0
    .symbol:         _ZN7rocprim17ROCPRIM_400000_NS6detail17trampoline_kernelINS0_14default_configENS1_25partition_config_selectorILNS1_17partition_subalgoE9EllbEEZZNS1_14partition_implILS5_9ELb0ES3_jPKlN6thrust23THRUST_200600_302600_NS17counting_iteratorIlNSB_11use_defaultESD_SD_EEPNS0_10empty_typeENS0_5tupleIJPlSF_EEENSH_IJSI_SG_EEENS0_18inequality_wrapperIN6hipcub16HIPCUB_304000_NS8EqualityEEESI_JSF_EEE10hipError_tPvRmT3_T4_T5_T6_T7_T9_mT8_P12ihipStream_tbDpT10_ENKUlT_T0_E_clISt17integral_constantIbLb1EES19_EEDaS14_S15_EUlS14_E_NS1_11comp_targetILNS1_3genE2ELNS1_11target_archE906ELNS1_3gpuE6ELNS1_3repE0EEENS1_30default_config_static_selectorELNS0_4arch9wavefront6targetE1EEEvT1_.kd
    .uniform_work_group_size: 1
    .uses_dynamic_stack: false
    .vgpr_count:     0
    .vgpr_spill_count: 0
    .wavefront_size: 64
  - .agpr_count:     0
    .args:
      - .offset:         0
        .size:           128
        .value_kind:     by_value
    .group_segment_fixed_size: 0
    .kernarg_segment_align: 8
    .kernarg_segment_size: 128
    .language:       OpenCL C
    .language_version:
      - 2
      - 0
    .max_flat_workgroup_size: 384
    .name:           _ZN7rocprim17ROCPRIM_400000_NS6detail17trampoline_kernelINS0_14default_configENS1_25partition_config_selectorILNS1_17partition_subalgoE9EllbEEZZNS1_14partition_implILS5_9ELb0ES3_jPKlN6thrust23THRUST_200600_302600_NS17counting_iteratorIlNSB_11use_defaultESD_SD_EEPNS0_10empty_typeENS0_5tupleIJPlSF_EEENSH_IJSI_SG_EEENS0_18inequality_wrapperIN6hipcub16HIPCUB_304000_NS8EqualityEEESI_JSF_EEE10hipError_tPvRmT3_T4_T5_T6_T7_T9_mT8_P12ihipStream_tbDpT10_ENKUlT_T0_E_clISt17integral_constantIbLb1EES19_EEDaS14_S15_EUlS14_E_NS1_11comp_targetILNS1_3genE10ELNS1_11target_archE1200ELNS1_3gpuE4ELNS1_3repE0EEENS1_30default_config_static_selectorELNS0_4arch9wavefront6targetE1EEEvT1_
    .private_segment_fixed_size: 0
    .sgpr_count:     6
    .sgpr_spill_count: 0
    .symbol:         _ZN7rocprim17ROCPRIM_400000_NS6detail17trampoline_kernelINS0_14default_configENS1_25partition_config_selectorILNS1_17partition_subalgoE9EllbEEZZNS1_14partition_implILS5_9ELb0ES3_jPKlN6thrust23THRUST_200600_302600_NS17counting_iteratorIlNSB_11use_defaultESD_SD_EEPNS0_10empty_typeENS0_5tupleIJPlSF_EEENSH_IJSI_SG_EEENS0_18inequality_wrapperIN6hipcub16HIPCUB_304000_NS8EqualityEEESI_JSF_EEE10hipError_tPvRmT3_T4_T5_T6_T7_T9_mT8_P12ihipStream_tbDpT10_ENKUlT_T0_E_clISt17integral_constantIbLb1EES19_EEDaS14_S15_EUlS14_E_NS1_11comp_targetILNS1_3genE10ELNS1_11target_archE1200ELNS1_3gpuE4ELNS1_3repE0EEENS1_30default_config_static_selectorELNS0_4arch9wavefront6targetE1EEEvT1_.kd
    .uniform_work_group_size: 1
    .uses_dynamic_stack: false
    .vgpr_count:     0
    .vgpr_spill_count: 0
    .wavefront_size: 64
  - .agpr_count:     0
    .args:
      - .offset:         0
        .size:           128
        .value_kind:     by_value
    .group_segment_fixed_size: 0
    .kernarg_segment_align: 8
    .kernarg_segment_size: 128
    .language:       OpenCL C
    .language_version:
      - 2
      - 0
    .max_flat_workgroup_size: 512
    .name:           _ZN7rocprim17ROCPRIM_400000_NS6detail17trampoline_kernelINS0_14default_configENS1_25partition_config_selectorILNS1_17partition_subalgoE9EllbEEZZNS1_14partition_implILS5_9ELb0ES3_jPKlN6thrust23THRUST_200600_302600_NS17counting_iteratorIlNSB_11use_defaultESD_SD_EEPNS0_10empty_typeENS0_5tupleIJPlSF_EEENSH_IJSI_SG_EEENS0_18inequality_wrapperIN6hipcub16HIPCUB_304000_NS8EqualityEEESI_JSF_EEE10hipError_tPvRmT3_T4_T5_T6_T7_T9_mT8_P12ihipStream_tbDpT10_ENKUlT_T0_E_clISt17integral_constantIbLb1EES19_EEDaS14_S15_EUlS14_E_NS1_11comp_targetILNS1_3genE9ELNS1_11target_archE1100ELNS1_3gpuE3ELNS1_3repE0EEENS1_30default_config_static_selectorELNS0_4arch9wavefront6targetE1EEEvT1_
    .private_segment_fixed_size: 0
    .sgpr_count:     6
    .sgpr_spill_count: 0
    .symbol:         _ZN7rocprim17ROCPRIM_400000_NS6detail17trampoline_kernelINS0_14default_configENS1_25partition_config_selectorILNS1_17partition_subalgoE9EllbEEZZNS1_14partition_implILS5_9ELb0ES3_jPKlN6thrust23THRUST_200600_302600_NS17counting_iteratorIlNSB_11use_defaultESD_SD_EEPNS0_10empty_typeENS0_5tupleIJPlSF_EEENSH_IJSI_SG_EEENS0_18inequality_wrapperIN6hipcub16HIPCUB_304000_NS8EqualityEEESI_JSF_EEE10hipError_tPvRmT3_T4_T5_T6_T7_T9_mT8_P12ihipStream_tbDpT10_ENKUlT_T0_E_clISt17integral_constantIbLb1EES19_EEDaS14_S15_EUlS14_E_NS1_11comp_targetILNS1_3genE9ELNS1_11target_archE1100ELNS1_3gpuE3ELNS1_3repE0EEENS1_30default_config_static_selectorELNS0_4arch9wavefront6targetE1EEEvT1_.kd
    .uniform_work_group_size: 1
    .uses_dynamic_stack: false
    .vgpr_count:     0
    .vgpr_spill_count: 0
    .wavefront_size: 64
  - .agpr_count:     0
    .args:
      - .offset:         0
        .size:           128
        .value_kind:     by_value
    .group_segment_fixed_size: 0
    .kernarg_segment_align: 8
    .kernarg_segment_size: 128
    .language:       OpenCL C
    .language_version:
      - 2
      - 0
    .max_flat_workgroup_size: 512
    .name:           _ZN7rocprim17ROCPRIM_400000_NS6detail17trampoline_kernelINS0_14default_configENS1_25partition_config_selectorILNS1_17partition_subalgoE9EllbEEZZNS1_14partition_implILS5_9ELb0ES3_jPKlN6thrust23THRUST_200600_302600_NS17counting_iteratorIlNSB_11use_defaultESD_SD_EEPNS0_10empty_typeENS0_5tupleIJPlSF_EEENSH_IJSI_SG_EEENS0_18inequality_wrapperIN6hipcub16HIPCUB_304000_NS8EqualityEEESI_JSF_EEE10hipError_tPvRmT3_T4_T5_T6_T7_T9_mT8_P12ihipStream_tbDpT10_ENKUlT_T0_E_clISt17integral_constantIbLb1EES19_EEDaS14_S15_EUlS14_E_NS1_11comp_targetILNS1_3genE8ELNS1_11target_archE1030ELNS1_3gpuE2ELNS1_3repE0EEENS1_30default_config_static_selectorELNS0_4arch9wavefront6targetE1EEEvT1_
    .private_segment_fixed_size: 0
    .sgpr_count:     6
    .sgpr_spill_count: 0
    .symbol:         _ZN7rocprim17ROCPRIM_400000_NS6detail17trampoline_kernelINS0_14default_configENS1_25partition_config_selectorILNS1_17partition_subalgoE9EllbEEZZNS1_14partition_implILS5_9ELb0ES3_jPKlN6thrust23THRUST_200600_302600_NS17counting_iteratorIlNSB_11use_defaultESD_SD_EEPNS0_10empty_typeENS0_5tupleIJPlSF_EEENSH_IJSI_SG_EEENS0_18inequality_wrapperIN6hipcub16HIPCUB_304000_NS8EqualityEEESI_JSF_EEE10hipError_tPvRmT3_T4_T5_T6_T7_T9_mT8_P12ihipStream_tbDpT10_ENKUlT_T0_E_clISt17integral_constantIbLb1EES19_EEDaS14_S15_EUlS14_E_NS1_11comp_targetILNS1_3genE8ELNS1_11target_archE1030ELNS1_3gpuE2ELNS1_3repE0EEENS1_30default_config_static_selectorELNS0_4arch9wavefront6targetE1EEEvT1_.kd
    .uniform_work_group_size: 1
    .uses_dynamic_stack: false
    .vgpr_count:     0
    .vgpr_spill_count: 0
    .wavefront_size: 64
  - .agpr_count:     0
    .args:
      - .offset:         0
        .size:           112
        .value_kind:     by_value
    .group_segment_fixed_size: 0
    .kernarg_segment_align: 8
    .kernarg_segment_size: 112
    .language:       OpenCL C
    .language_version:
      - 2
      - 0
    .max_flat_workgroup_size: 128
    .name:           _ZN7rocprim17ROCPRIM_400000_NS6detail17trampoline_kernelINS0_14default_configENS1_25partition_config_selectorILNS1_17partition_subalgoE9EllbEEZZNS1_14partition_implILS5_9ELb0ES3_jPKlN6thrust23THRUST_200600_302600_NS17counting_iteratorIlNSB_11use_defaultESD_SD_EEPNS0_10empty_typeENS0_5tupleIJPlSF_EEENSH_IJSI_SG_EEENS0_18inequality_wrapperIN6hipcub16HIPCUB_304000_NS8EqualityEEESI_JSF_EEE10hipError_tPvRmT3_T4_T5_T6_T7_T9_mT8_P12ihipStream_tbDpT10_ENKUlT_T0_E_clISt17integral_constantIbLb1EES18_IbLb0EEEEDaS14_S15_EUlS14_E_NS1_11comp_targetILNS1_3genE0ELNS1_11target_archE4294967295ELNS1_3gpuE0ELNS1_3repE0EEENS1_30default_config_static_selectorELNS0_4arch9wavefront6targetE1EEEvT1_
    .private_segment_fixed_size: 0
    .sgpr_count:     6
    .sgpr_spill_count: 0
    .symbol:         _ZN7rocprim17ROCPRIM_400000_NS6detail17trampoline_kernelINS0_14default_configENS1_25partition_config_selectorILNS1_17partition_subalgoE9EllbEEZZNS1_14partition_implILS5_9ELb0ES3_jPKlN6thrust23THRUST_200600_302600_NS17counting_iteratorIlNSB_11use_defaultESD_SD_EEPNS0_10empty_typeENS0_5tupleIJPlSF_EEENSH_IJSI_SG_EEENS0_18inequality_wrapperIN6hipcub16HIPCUB_304000_NS8EqualityEEESI_JSF_EEE10hipError_tPvRmT3_T4_T5_T6_T7_T9_mT8_P12ihipStream_tbDpT10_ENKUlT_T0_E_clISt17integral_constantIbLb1EES18_IbLb0EEEEDaS14_S15_EUlS14_E_NS1_11comp_targetILNS1_3genE0ELNS1_11target_archE4294967295ELNS1_3gpuE0ELNS1_3repE0EEENS1_30default_config_static_selectorELNS0_4arch9wavefront6targetE1EEEvT1_.kd
    .uniform_work_group_size: 1
    .uses_dynamic_stack: false
    .vgpr_count:     0
    .vgpr_spill_count: 0
    .wavefront_size: 64
  - .agpr_count:     0
    .args:
      - .offset:         0
        .size:           112
        .value_kind:     by_value
    .group_segment_fixed_size: 28680
    .kernarg_segment_align: 8
    .kernarg_segment_size: 112
    .language:       OpenCL C
    .language_version:
      - 2
      - 0
    .max_flat_workgroup_size: 512
    .name:           _ZN7rocprim17ROCPRIM_400000_NS6detail17trampoline_kernelINS0_14default_configENS1_25partition_config_selectorILNS1_17partition_subalgoE9EllbEEZZNS1_14partition_implILS5_9ELb0ES3_jPKlN6thrust23THRUST_200600_302600_NS17counting_iteratorIlNSB_11use_defaultESD_SD_EEPNS0_10empty_typeENS0_5tupleIJPlSF_EEENSH_IJSI_SG_EEENS0_18inequality_wrapperIN6hipcub16HIPCUB_304000_NS8EqualityEEESI_JSF_EEE10hipError_tPvRmT3_T4_T5_T6_T7_T9_mT8_P12ihipStream_tbDpT10_ENKUlT_T0_E_clISt17integral_constantIbLb1EES18_IbLb0EEEEDaS14_S15_EUlS14_E_NS1_11comp_targetILNS1_3genE5ELNS1_11target_archE942ELNS1_3gpuE9ELNS1_3repE0EEENS1_30default_config_static_selectorELNS0_4arch9wavefront6targetE1EEEvT1_
    .private_segment_fixed_size: 0
    .sgpr_count:     48
    .sgpr_spill_count: 0
    .symbol:         _ZN7rocprim17ROCPRIM_400000_NS6detail17trampoline_kernelINS0_14default_configENS1_25partition_config_selectorILNS1_17partition_subalgoE9EllbEEZZNS1_14partition_implILS5_9ELb0ES3_jPKlN6thrust23THRUST_200600_302600_NS17counting_iteratorIlNSB_11use_defaultESD_SD_EEPNS0_10empty_typeENS0_5tupleIJPlSF_EEENSH_IJSI_SG_EEENS0_18inequality_wrapperIN6hipcub16HIPCUB_304000_NS8EqualityEEESI_JSF_EEE10hipError_tPvRmT3_T4_T5_T6_T7_T9_mT8_P12ihipStream_tbDpT10_ENKUlT_T0_E_clISt17integral_constantIbLb1EES18_IbLb0EEEEDaS14_S15_EUlS14_E_NS1_11comp_targetILNS1_3genE5ELNS1_11target_archE942ELNS1_3gpuE9ELNS1_3repE0EEENS1_30default_config_static_selectorELNS0_4arch9wavefront6targetE1EEEvT1_.kd
    .uniform_work_group_size: 1
    .uses_dynamic_stack: false
    .vgpr_count:     66
    .vgpr_spill_count: 0
    .wavefront_size: 64
  - .agpr_count:     0
    .args:
      - .offset:         0
        .size:           112
        .value_kind:     by_value
    .group_segment_fixed_size: 0
    .kernarg_segment_align: 8
    .kernarg_segment_size: 112
    .language:       OpenCL C
    .language_version:
      - 2
      - 0
    .max_flat_workgroup_size: 128
    .name:           _ZN7rocprim17ROCPRIM_400000_NS6detail17trampoline_kernelINS0_14default_configENS1_25partition_config_selectorILNS1_17partition_subalgoE9EllbEEZZNS1_14partition_implILS5_9ELb0ES3_jPKlN6thrust23THRUST_200600_302600_NS17counting_iteratorIlNSB_11use_defaultESD_SD_EEPNS0_10empty_typeENS0_5tupleIJPlSF_EEENSH_IJSI_SG_EEENS0_18inequality_wrapperIN6hipcub16HIPCUB_304000_NS8EqualityEEESI_JSF_EEE10hipError_tPvRmT3_T4_T5_T6_T7_T9_mT8_P12ihipStream_tbDpT10_ENKUlT_T0_E_clISt17integral_constantIbLb1EES18_IbLb0EEEEDaS14_S15_EUlS14_E_NS1_11comp_targetILNS1_3genE4ELNS1_11target_archE910ELNS1_3gpuE8ELNS1_3repE0EEENS1_30default_config_static_selectorELNS0_4arch9wavefront6targetE1EEEvT1_
    .private_segment_fixed_size: 0
    .sgpr_count:     6
    .sgpr_spill_count: 0
    .symbol:         _ZN7rocprim17ROCPRIM_400000_NS6detail17trampoline_kernelINS0_14default_configENS1_25partition_config_selectorILNS1_17partition_subalgoE9EllbEEZZNS1_14partition_implILS5_9ELb0ES3_jPKlN6thrust23THRUST_200600_302600_NS17counting_iteratorIlNSB_11use_defaultESD_SD_EEPNS0_10empty_typeENS0_5tupleIJPlSF_EEENSH_IJSI_SG_EEENS0_18inequality_wrapperIN6hipcub16HIPCUB_304000_NS8EqualityEEESI_JSF_EEE10hipError_tPvRmT3_T4_T5_T6_T7_T9_mT8_P12ihipStream_tbDpT10_ENKUlT_T0_E_clISt17integral_constantIbLb1EES18_IbLb0EEEEDaS14_S15_EUlS14_E_NS1_11comp_targetILNS1_3genE4ELNS1_11target_archE910ELNS1_3gpuE8ELNS1_3repE0EEENS1_30default_config_static_selectorELNS0_4arch9wavefront6targetE1EEEvT1_.kd
    .uniform_work_group_size: 1
    .uses_dynamic_stack: false
    .vgpr_count:     0
    .vgpr_spill_count: 0
    .wavefront_size: 64
  - .agpr_count:     0
    .args:
      - .offset:         0
        .size:           112
        .value_kind:     by_value
    .group_segment_fixed_size: 0
    .kernarg_segment_align: 8
    .kernarg_segment_size: 112
    .language:       OpenCL C
    .language_version:
      - 2
      - 0
    .max_flat_workgroup_size: 128
    .name:           _ZN7rocprim17ROCPRIM_400000_NS6detail17trampoline_kernelINS0_14default_configENS1_25partition_config_selectorILNS1_17partition_subalgoE9EllbEEZZNS1_14partition_implILS5_9ELb0ES3_jPKlN6thrust23THRUST_200600_302600_NS17counting_iteratorIlNSB_11use_defaultESD_SD_EEPNS0_10empty_typeENS0_5tupleIJPlSF_EEENSH_IJSI_SG_EEENS0_18inequality_wrapperIN6hipcub16HIPCUB_304000_NS8EqualityEEESI_JSF_EEE10hipError_tPvRmT3_T4_T5_T6_T7_T9_mT8_P12ihipStream_tbDpT10_ENKUlT_T0_E_clISt17integral_constantIbLb1EES18_IbLb0EEEEDaS14_S15_EUlS14_E_NS1_11comp_targetILNS1_3genE3ELNS1_11target_archE908ELNS1_3gpuE7ELNS1_3repE0EEENS1_30default_config_static_selectorELNS0_4arch9wavefront6targetE1EEEvT1_
    .private_segment_fixed_size: 0
    .sgpr_count:     6
    .sgpr_spill_count: 0
    .symbol:         _ZN7rocprim17ROCPRIM_400000_NS6detail17trampoline_kernelINS0_14default_configENS1_25partition_config_selectorILNS1_17partition_subalgoE9EllbEEZZNS1_14partition_implILS5_9ELb0ES3_jPKlN6thrust23THRUST_200600_302600_NS17counting_iteratorIlNSB_11use_defaultESD_SD_EEPNS0_10empty_typeENS0_5tupleIJPlSF_EEENSH_IJSI_SG_EEENS0_18inequality_wrapperIN6hipcub16HIPCUB_304000_NS8EqualityEEESI_JSF_EEE10hipError_tPvRmT3_T4_T5_T6_T7_T9_mT8_P12ihipStream_tbDpT10_ENKUlT_T0_E_clISt17integral_constantIbLb1EES18_IbLb0EEEEDaS14_S15_EUlS14_E_NS1_11comp_targetILNS1_3genE3ELNS1_11target_archE908ELNS1_3gpuE7ELNS1_3repE0EEENS1_30default_config_static_selectorELNS0_4arch9wavefront6targetE1EEEvT1_.kd
    .uniform_work_group_size: 1
    .uses_dynamic_stack: false
    .vgpr_count:     0
    .vgpr_spill_count: 0
    .wavefront_size: 64
  - .agpr_count:     0
    .args:
      - .offset:         0
        .size:           112
        .value_kind:     by_value
    .group_segment_fixed_size: 0
    .kernarg_segment_align: 8
    .kernarg_segment_size: 112
    .language:       OpenCL C
    .language_version:
      - 2
      - 0
    .max_flat_workgroup_size: 192
    .name:           _ZN7rocprim17ROCPRIM_400000_NS6detail17trampoline_kernelINS0_14default_configENS1_25partition_config_selectorILNS1_17partition_subalgoE9EllbEEZZNS1_14partition_implILS5_9ELb0ES3_jPKlN6thrust23THRUST_200600_302600_NS17counting_iteratorIlNSB_11use_defaultESD_SD_EEPNS0_10empty_typeENS0_5tupleIJPlSF_EEENSH_IJSI_SG_EEENS0_18inequality_wrapperIN6hipcub16HIPCUB_304000_NS8EqualityEEESI_JSF_EEE10hipError_tPvRmT3_T4_T5_T6_T7_T9_mT8_P12ihipStream_tbDpT10_ENKUlT_T0_E_clISt17integral_constantIbLb1EES18_IbLb0EEEEDaS14_S15_EUlS14_E_NS1_11comp_targetILNS1_3genE2ELNS1_11target_archE906ELNS1_3gpuE6ELNS1_3repE0EEENS1_30default_config_static_selectorELNS0_4arch9wavefront6targetE1EEEvT1_
    .private_segment_fixed_size: 0
    .sgpr_count:     6
    .sgpr_spill_count: 0
    .symbol:         _ZN7rocprim17ROCPRIM_400000_NS6detail17trampoline_kernelINS0_14default_configENS1_25partition_config_selectorILNS1_17partition_subalgoE9EllbEEZZNS1_14partition_implILS5_9ELb0ES3_jPKlN6thrust23THRUST_200600_302600_NS17counting_iteratorIlNSB_11use_defaultESD_SD_EEPNS0_10empty_typeENS0_5tupleIJPlSF_EEENSH_IJSI_SG_EEENS0_18inequality_wrapperIN6hipcub16HIPCUB_304000_NS8EqualityEEESI_JSF_EEE10hipError_tPvRmT3_T4_T5_T6_T7_T9_mT8_P12ihipStream_tbDpT10_ENKUlT_T0_E_clISt17integral_constantIbLb1EES18_IbLb0EEEEDaS14_S15_EUlS14_E_NS1_11comp_targetILNS1_3genE2ELNS1_11target_archE906ELNS1_3gpuE6ELNS1_3repE0EEENS1_30default_config_static_selectorELNS0_4arch9wavefront6targetE1EEEvT1_.kd
    .uniform_work_group_size: 1
    .uses_dynamic_stack: false
    .vgpr_count:     0
    .vgpr_spill_count: 0
    .wavefront_size: 64
  - .agpr_count:     0
    .args:
      - .offset:         0
        .size:           112
        .value_kind:     by_value
    .group_segment_fixed_size: 0
    .kernarg_segment_align: 8
    .kernarg_segment_size: 112
    .language:       OpenCL C
    .language_version:
      - 2
      - 0
    .max_flat_workgroup_size: 384
    .name:           _ZN7rocprim17ROCPRIM_400000_NS6detail17trampoline_kernelINS0_14default_configENS1_25partition_config_selectorILNS1_17partition_subalgoE9EllbEEZZNS1_14partition_implILS5_9ELb0ES3_jPKlN6thrust23THRUST_200600_302600_NS17counting_iteratorIlNSB_11use_defaultESD_SD_EEPNS0_10empty_typeENS0_5tupleIJPlSF_EEENSH_IJSI_SG_EEENS0_18inequality_wrapperIN6hipcub16HIPCUB_304000_NS8EqualityEEESI_JSF_EEE10hipError_tPvRmT3_T4_T5_T6_T7_T9_mT8_P12ihipStream_tbDpT10_ENKUlT_T0_E_clISt17integral_constantIbLb1EES18_IbLb0EEEEDaS14_S15_EUlS14_E_NS1_11comp_targetILNS1_3genE10ELNS1_11target_archE1200ELNS1_3gpuE4ELNS1_3repE0EEENS1_30default_config_static_selectorELNS0_4arch9wavefront6targetE1EEEvT1_
    .private_segment_fixed_size: 0
    .sgpr_count:     6
    .sgpr_spill_count: 0
    .symbol:         _ZN7rocprim17ROCPRIM_400000_NS6detail17trampoline_kernelINS0_14default_configENS1_25partition_config_selectorILNS1_17partition_subalgoE9EllbEEZZNS1_14partition_implILS5_9ELb0ES3_jPKlN6thrust23THRUST_200600_302600_NS17counting_iteratorIlNSB_11use_defaultESD_SD_EEPNS0_10empty_typeENS0_5tupleIJPlSF_EEENSH_IJSI_SG_EEENS0_18inequality_wrapperIN6hipcub16HIPCUB_304000_NS8EqualityEEESI_JSF_EEE10hipError_tPvRmT3_T4_T5_T6_T7_T9_mT8_P12ihipStream_tbDpT10_ENKUlT_T0_E_clISt17integral_constantIbLb1EES18_IbLb0EEEEDaS14_S15_EUlS14_E_NS1_11comp_targetILNS1_3genE10ELNS1_11target_archE1200ELNS1_3gpuE4ELNS1_3repE0EEENS1_30default_config_static_selectorELNS0_4arch9wavefront6targetE1EEEvT1_.kd
    .uniform_work_group_size: 1
    .uses_dynamic_stack: false
    .vgpr_count:     0
    .vgpr_spill_count: 0
    .wavefront_size: 64
  - .agpr_count:     0
    .args:
      - .offset:         0
        .size:           112
        .value_kind:     by_value
    .group_segment_fixed_size: 0
    .kernarg_segment_align: 8
    .kernarg_segment_size: 112
    .language:       OpenCL C
    .language_version:
      - 2
      - 0
    .max_flat_workgroup_size: 512
    .name:           _ZN7rocprim17ROCPRIM_400000_NS6detail17trampoline_kernelINS0_14default_configENS1_25partition_config_selectorILNS1_17partition_subalgoE9EllbEEZZNS1_14partition_implILS5_9ELb0ES3_jPKlN6thrust23THRUST_200600_302600_NS17counting_iteratorIlNSB_11use_defaultESD_SD_EEPNS0_10empty_typeENS0_5tupleIJPlSF_EEENSH_IJSI_SG_EEENS0_18inequality_wrapperIN6hipcub16HIPCUB_304000_NS8EqualityEEESI_JSF_EEE10hipError_tPvRmT3_T4_T5_T6_T7_T9_mT8_P12ihipStream_tbDpT10_ENKUlT_T0_E_clISt17integral_constantIbLb1EES18_IbLb0EEEEDaS14_S15_EUlS14_E_NS1_11comp_targetILNS1_3genE9ELNS1_11target_archE1100ELNS1_3gpuE3ELNS1_3repE0EEENS1_30default_config_static_selectorELNS0_4arch9wavefront6targetE1EEEvT1_
    .private_segment_fixed_size: 0
    .sgpr_count:     6
    .sgpr_spill_count: 0
    .symbol:         _ZN7rocprim17ROCPRIM_400000_NS6detail17trampoline_kernelINS0_14default_configENS1_25partition_config_selectorILNS1_17partition_subalgoE9EllbEEZZNS1_14partition_implILS5_9ELb0ES3_jPKlN6thrust23THRUST_200600_302600_NS17counting_iteratorIlNSB_11use_defaultESD_SD_EEPNS0_10empty_typeENS0_5tupleIJPlSF_EEENSH_IJSI_SG_EEENS0_18inequality_wrapperIN6hipcub16HIPCUB_304000_NS8EqualityEEESI_JSF_EEE10hipError_tPvRmT3_T4_T5_T6_T7_T9_mT8_P12ihipStream_tbDpT10_ENKUlT_T0_E_clISt17integral_constantIbLb1EES18_IbLb0EEEEDaS14_S15_EUlS14_E_NS1_11comp_targetILNS1_3genE9ELNS1_11target_archE1100ELNS1_3gpuE3ELNS1_3repE0EEENS1_30default_config_static_selectorELNS0_4arch9wavefront6targetE1EEEvT1_.kd
    .uniform_work_group_size: 1
    .uses_dynamic_stack: false
    .vgpr_count:     0
    .vgpr_spill_count: 0
    .wavefront_size: 64
  - .agpr_count:     0
    .args:
      - .offset:         0
        .size:           112
        .value_kind:     by_value
    .group_segment_fixed_size: 0
    .kernarg_segment_align: 8
    .kernarg_segment_size: 112
    .language:       OpenCL C
    .language_version:
      - 2
      - 0
    .max_flat_workgroup_size: 512
    .name:           _ZN7rocprim17ROCPRIM_400000_NS6detail17trampoline_kernelINS0_14default_configENS1_25partition_config_selectorILNS1_17partition_subalgoE9EllbEEZZNS1_14partition_implILS5_9ELb0ES3_jPKlN6thrust23THRUST_200600_302600_NS17counting_iteratorIlNSB_11use_defaultESD_SD_EEPNS0_10empty_typeENS0_5tupleIJPlSF_EEENSH_IJSI_SG_EEENS0_18inequality_wrapperIN6hipcub16HIPCUB_304000_NS8EqualityEEESI_JSF_EEE10hipError_tPvRmT3_T4_T5_T6_T7_T9_mT8_P12ihipStream_tbDpT10_ENKUlT_T0_E_clISt17integral_constantIbLb1EES18_IbLb0EEEEDaS14_S15_EUlS14_E_NS1_11comp_targetILNS1_3genE8ELNS1_11target_archE1030ELNS1_3gpuE2ELNS1_3repE0EEENS1_30default_config_static_selectorELNS0_4arch9wavefront6targetE1EEEvT1_
    .private_segment_fixed_size: 0
    .sgpr_count:     6
    .sgpr_spill_count: 0
    .symbol:         _ZN7rocprim17ROCPRIM_400000_NS6detail17trampoline_kernelINS0_14default_configENS1_25partition_config_selectorILNS1_17partition_subalgoE9EllbEEZZNS1_14partition_implILS5_9ELb0ES3_jPKlN6thrust23THRUST_200600_302600_NS17counting_iteratorIlNSB_11use_defaultESD_SD_EEPNS0_10empty_typeENS0_5tupleIJPlSF_EEENSH_IJSI_SG_EEENS0_18inequality_wrapperIN6hipcub16HIPCUB_304000_NS8EqualityEEESI_JSF_EEE10hipError_tPvRmT3_T4_T5_T6_T7_T9_mT8_P12ihipStream_tbDpT10_ENKUlT_T0_E_clISt17integral_constantIbLb1EES18_IbLb0EEEEDaS14_S15_EUlS14_E_NS1_11comp_targetILNS1_3genE8ELNS1_11target_archE1030ELNS1_3gpuE2ELNS1_3repE0EEENS1_30default_config_static_selectorELNS0_4arch9wavefront6targetE1EEEvT1_.kd
    .uniform_work_group_size: 1
    .uses_dynamic_stack: false
    .vgpr_count:     0
    .vgpr_spill_count: 0
    .wavefront_size: 64
  - .agpr_count:     0
    .args:
      - .offset:         0
        .size:           128
        .value_kind:     by_value
    .group_segment_fixed_size: 0
    .kernarg_segment_align: 8
    .kernarg_segment_size: 128
    .language:       OpenCL C
    .language_version:
      - 2
      - 0
    .max_flat_workgroup_size: 128
    .name:           _ZN7rocprim17ROCPRIM_400000_NS6detail17trampoline_kernelINS0_14default_configENS1_25partition_config_selectorILNS1_17partition_subalgoE9EllbEEZZNS1_14partition_implILS5_9ELb0ES3_jPKlN6thrust23THRUST_200600_302600_NS17counting_iteratorIlNSB_11use_defaultESD_SD_EEPNS0_10empty_typeENS0_5tupleIJPlSF_EEENSH_IJSI_SG_EEENS0_18inequality_wrapperIN6hipcub16HIPCUB_304000_NS8EqualityEEESI_JSF_EEE10hipError_tPvRmT3_T4_T5_T6_T7_T9_mT8_P12ihipStream_tbDpT10_ENKUlT_T0_E_clISt17integral_constantIbLb0EES18_IbLb1EEEEDaS14_S15_EUlS14_E_NS1_11comp_targetILNS1_3genE0ELNS1_11target_archE4294967295ELNS1_3gpuE0ELNS1_3repE0EEENS1_30default_config_static_selectorELNS0_4arch9wavefront6targetE1EEEvT1_
    .private_segment_fixed_size: 0
    .sgpr_count:     6
    .sgpr_spill_count: 0
    .symbol:         _ZN7rocprim17ROCPRIM_400000_NS6detail17trampoline_kernelINS0_14default_configENS1_25partition_config_selectorILNS1_17partition_subalgoE9EllbEEZZNS1_14partition_implILS5_9ELb0ES3_jPKlN6thrust23THRUST_200600_302600_NS17counting_iteratorIlNSB_11use_defaultESD_SD_EEPNS0_10empty_typeENS0_5tupleIJPlSF_EEENSH_IJSI_SG_EEENS0_18inequality_wrapperIN6hipcub16HIPCUB_304000_NS8EqualityEEESI_JSF_EEE10hipError_tPvRmT3_T4_T5_T6_T7_T9_mT8_P12ihipStream_tbDpT10_ENKUlT_T0_E_clISt17integral_constantIbLb0EES18_IbLb1EEEEDaS14_S15_EUlS14_E_NS1_11comp_targetILNS1_3genE0ELNS1_11target_archE4294967295ELNS1_3gpuE0ELNS1_3repE0EEENS1_30default_config_static_selectorELNS0_4arch9wavefront6targetE1EEEvT1_.kd
    .uniform_work_group_size: 1
    .uses_dynamic_stack: false
    .vgpr_count:     0
    .vgpr_spill_count: 0
    .wavefront_size: 64
  - .agpr_count:     0
    .args:
      - .offset:         0
        .size:           128
        .value_kind:     by_value
    .group_segment_fixed_size: 28680
    .kernarg_segment_align: 8
    .kernarg_segment_size: 128
    .language:       OpenCL C
    .language_version:
      - 2
      - 0
    .max_flat_workgroup_size: 512
    .name:           _ZN7rocprim17ROCPRIM_400000_NS6detail17trampoline_kernelINS0_14default_configENS1_25partition_config_selectorILNS1_17partition_subalgoE9EllbEEZZNS1_14partition_implILS5_9ELb0ES3_jPKlN6thrust23THRUST_200600_302600_NS17counting_iteratorIlNSB_11use_defaultESD_SD_EEPNS0_10empty_typeENS0_5tupleIJPlSF_EEENSH_IJSI_SG_EEENS0_18inequality_wrapperIN6hipcub16HIPCUB_304000_NS8EqualityEEESI_JSF_EEE10hipError_tPvRmT3_T4_T5_T6_T7_T9_mT8_P12ihipStream_tbDpT10_ENKUlT_T0_E_clISt17integral_constantIbLb0EES18_IbLb1EEEEDaS14_S15_EUlS14_E_NS1_11comp_targetILNS1_3genE5ELNS1_11target_archE942ELNS1_3gpuE9ELNS1_3repE0EEENS1_30default_config_static_selectorELNS0_4arch9wavefront6targetE1EEEvT1_
    .private_segment_fixed_size: 0
    .sgpr_count:     48
    .sgpr_spill_count: 0
    .symbol:         _ZN7rocprim17ROCPRIM_400000_NS6detail17trampoline_kernelINS0_14default_configENS1_25partition_config_selectorILNS1_17partition_subalgoE9EllbEEZZNS1_14partition_implILS5_9ELb0ES3_jPKlN6thrust23THRUST_200600_302600_NS17counting_iteratorIlNSB_11use_defaultESD_SD_EEPNS0_10empty_typeENS0_5tupleIJPlSF_EEENSH_IJSI_SG_EEENS0_18inequality_wrapperIN6hipcub16HIPCUB_304000_NS8EqualityEEESI_JSF_EEE10hipError_tPvRmT3_T4_T5_T6_T7_T9_mT8_P12ihipStream_tbDpT10_ENKUlT_T0_E_clISt17integral_constantIbLb0EES18_IbLb1EEEEDaS14_S15_EUlS14_E_NS1_11comp_targetILNS1_3genE5ELNS1_11target_archE942ELNS1_3gpuE9ELNS1_3repE0EEENS1_30default_config_static_selectorELNS0_4arch9wavefront6targetE1EEEvT1_.kd
    .uniform_work_group_size: 1
    .uses_dynamic_stack: false
    .vgpr_count:     66
    .vgpr_spill_count: 0
    .wavefront_size: 64
  - .agpr_count:     0
    .args:
      - .offset:         0
        .size:           128
        .value_kind:     by_value
    .group_segment_fixed_size: 0
    .kernarg_segment_align: 8
    .kernarg_segment_size: 128
    .language:       OpenCL C
    .language_version:
      - 2
      - 0
    .max_flat_workgroup_size: 128
    .name:           _ZN7rocprim17ROCPRIM_400000_NS6detail17trampoline_kernelINS0_14default_configENS1_25partition_config_selectorILNS1_17partition_subalgoE9EllbEEZZNS1_14partition_implILS5_9ELb0ES3_jPKlN6thrust23THRUST_200600_302600_NS17counting_iteratorIlNSB_11use_defaultESD_SD_EEPNS0_10empty_typeENS0_5tupleIJPlSF_EEENSH_IJSI_SG_EEENS0_18inequality_wrapperIN6hipcub16HIPCUB_304000_NS8EqualityEEESI_JSF_EEE10hipError_tPvRmT3_T4_T5_T6_T7_T9_mT8_P12ihipStream_tbDpT10_ENKUlT_T0_E_clISt17integral_constantIbLb0EES18_IbLb1EEEEDaS14_S15_EUlS14_E_NS1_11comp_targetILNS1_3genE4ELNS1_11target_archE910ELNS1_3gpuE8ELNS1_3repE0EEENS1_30default_config_static_selectorELNS0_4arch9wavefront6targetE1EEEvT1_
    .private_segment_fixed_size: 0
    .sgpr_count:     6
    .sgpr_spill_count: 0
    .symbol:         _ZN7rocprim17ROCPRIM_400000_NS6detail17trampoline_kernelINS0_14default_configENS1_25partition_config_selectorILNS1_17partition_subalgoE9EllbEEZZNS1_14partition_implILS5_9ELb0ES3_jPKlN6thrust23THRUST_200600_302600_NS17counting_iteratorIlNSB_11use_defaultESD_SD_EEPNS0_10empty_typeENS0_5tupleIJPlSF_EEENSH_IJSI_SG_EEENS0_18inequality_wrapperIN6hipcub16HIPCUB_304000_NS8EqualityEEESI_JSF_EEE10hipError_tPvRmT3_T4_T5_T6_T7_T9_mT8_P12ihipStream_tbDpT10_ENKUlT_T0_E_clISt17integral_constantIbLb0EES18_IbLb1EEEEDaS14_S15_EUlS14_E_NS1_11comp_targetILNS1_3genE4ELNS1_11target_archE910ELNS1_3gpuE8ELNS1_3repE0EEENS1_30default_config_static_selectorELNS0_4arch9wavefront6targetE1EEEvT1_.kd
    .uniform_work_group_size: 1
    .uses_dynamic_stack: false
    .vgpr_count:     0
    .vgpr_spill_count: 0
    .wavefront_size: 64
  - .agpr_count:     0
    .args:
      - .offset:         0
        .size:           128
        .value_kind:     by_value
    .group_segment_fixed_size: 0
    .kernarg_segment_align: 8
    .kernarg_segment_size: 128
    .language:       OpenCL C
    .language_version:
      - 2
      - 0
    .max_flat_workgroup_size: 128
    .name:           _ZN7rocprim17ROCPRIM_400000_NS6detail17trampoline_kernelINS0_14default_configENS1_25partition_config_selectorILNS1_17partition_subalgoE9EllbEEZZNS1_14partition_implILS5_9ELb0ES3_jPKlN6thrust23THRUST_200600_302600_NS17counting_iteratorIlNSB_11use_defaultESD_SD_EEPNS0_10empty_typeENS0_5tupleIJPlSF_EEENSH_IJSI_SG_EEENS0_18inequality_wrapperIN6hipcub16HIPCUB_304000_NS8EqualityEEESI_JSF_EEE10hipError_tPvRmT3_T4_T5_T6_T7_T9_mT8_P12ihipStream_tbDpT10_ENKUlT_T0_E_clISt17integral_constantIbLb0EES18_IbLb1EEEEDaS14_S15_EUlS14_E_NS1_11comp_targetILNS1_3genE3ELNS1_11target_archE908ELNS1_3gpuE7ELNS1_3repE0EEENS1_30default_config_static_selectorELNS0_4arch9wavefront6targetE1EEEvT1_
    .private_segment_fixed_size: 0
    .sgpr_count:     6
    .sgpr_spill_count: 0
    .symbol:         _ZN7rocprim17ROCPRIM_400000_NS6detail17trampoline_kernelINS0_14default_configENS1_25partition_config_selectorILNS1_17partition_subalgoE9EllbEEZZNS1_14partition_implILS5_9ELb0ES3_jPKlN6thrust23THRUST_200600_302600_NS17counting_iteratorIlNSB_11use_defaultESD_SD_EEPNS0_10empty_typeENS0_5tupleIJPlSF_EEENSH_IJSI_SG_EEENS0_18inequality_wrapperIN6hipcub16HIPCUB_304000_NS8EqualityEEESI_JSF_EEE10hipError_tPvRmT3_T4_T5_T6_T7_T9_mT8_P12ihipStream_tbDpT10_ENKUlT_T0_E_clISt17integral_constantIbLb0EES18_IbLb1EEEEDaS14_S15_EUlS14_E_NS1_11comp_targetILNS1_3genE3ELNS1_11target_archE908ELNS1_3gpuE7ELNS1_3repE0EEENS1_30default_config_static_selectorELNS0_4arch9wavefront6targetE1EEEvT1_.kd
    .uniform_work_group_size: 1
    .uses_dynamic_stack: false
    .vgpr_count:     0
    .vgpr_spill_count: 0
    .wavefront_size: 64
  - .agpr_count:     0
    .args:
      - .offset:         0
        .size:           128
        .value_kind:     by_value
    .group_segment_fixed_size: 0
    .kernarg_segment_align: 8
    .kernarg_segment_size: 128
    .language:       OpenCL C
    .language_version:
      - 2
      - 0
    .max_flat_workgroup_size: 192
    .name:           _ZN7rocprim17ROCPRIM_400000_NS6detail17trampoline_kernelINS0_14default_configENS1_25partition_config_selectorILNS1_17partition_subalgoE9EllbEEZZNS1_14partition_implILS5_9ELb0ES3_jPKlN6thrust23THRUST_200600_302600_NS17counting_iteratorIlNSB_11use_defaultESD_SD_EEPNS0_10empty_typeENS0_5tupleIJPlSF_EEENSH_IJSI_SG_EEENS0_18inequality_wrapperIN6hipcub16HIPCUB_304000_NS8EqualityEEESI_JSF_EEE10hipError_tPvRmT3_T4_T5_T6_T7_T9_mT8_P12ihipStream_tbDpT10_ENKUlT_T0_E_clISt17integral_constantIbLb0EES18_IbLb1EEEEDaS14_S15_EUlS14_E_NS1_11comp_targetILNS1_3genE2ELNS1_11target_archE906ELNS1_3gpuE6ELNS1_3repE0EEENS1_30default_config_static_selectorELNS0_4arch9wavefront6targetE1EEEvT1_
    .private_segment_fixed_size: 0
    .sgpr_count:     6
    .sgpr_spill_count: 0
    .symbol:         _ZN7rocprim17ROCPRIM_400000_NS6detail17trampoline_kernelINS0_14default_configENS1_25partition_config_selectorILNS1_17partition_subalgoE9EllbEEZZNS1_14partition_implILS5_9ELb0ES3_jPKlN6thrust23THRUST_200600_302600_NS17counting_iteratorIlNSB_11use_defaultESD_SD_EEPNS0_10empty_typeENS0_5tupleIJPlSF_EEENSH_IJSI_SG_EEENS0_18inequality_wrapperIN6hipcub16HIPCUB_304000_NS8EqualityEEESI_JSF_EEE10hipError_tPvRmT3_T4_T5_T6_T7_T9_mT8_P12ihipStream_tbDpT10_ENKUlT_T0_E_clISt17integral_constantIbLb0EES18_IbLb1EEEEDaS14_S15_EUlS14_E_NS1_11comp_targetILNS1_3genE2ELNS1_11target_archE906ELNS1_3gpuE6ELNS1_3repE0EEENS1_30default_config_static_selectorELNS0_4arch9wavefront6targetE1EEEvT1_.kd
    .uniform_work_group_size: 1
    .uses_dynamic_stack: false
    .vgpr_count:     0
    .vgpr_spill_count: 0
    .wavefront_size: 64
  - .agpr_count:     0
    .args:
      - .offset:         0
        .size:           128
        .value_kind:     by_value
    .group_segment_fixed_size: 0
    .kernarg_segment_align: 8
    .kernarg_segment_size: 128
    .language:       OpenCL C
    .language_version:
      - 2
      - 0
    .max_flat_workgroup_size: 384
    .name:           _ZN7rocprim17ROCPRIM_400000_NS6detail17trampoline_kernelINS0_14default_configENS1_25partition_config_selectorILNS1_17partition_subalgoE9EllbEEZZNS1_14partition_implILS5_9ELb0ES3_jPKlN6thrust23THRUST_200600_302600_NS17counting_iteratorIlNSB_11use_defaultESD_SD_EEPNS0_10empty_typeENS0_5tupleIJPlSF_EEENSH_IJSI_SG_EEENS0_18inequality_wrapperIN6hipcub16HIPCUB_304000_NS8EqualityEEESI_JSF_EEE10hipError_tPvRmT3_T4_T5_T6_T7_T9_mT8_P12ihipStream_tbDpT10_ENKUlT_T0_E_clISt17integral_constantIbLb0EES18_IbLb1EEEEDaS14_S15_EUlS14_E_NS1_11comp_targetILNS1_3genE10ELNS1_11target_archE1200ELNS1_3gpuE4ELNS1_3repE0EEENS1_30default_config_static_selectorELNS0_4arch9wavefront6targetE1EEEvT1_
    .private_segment_fixed_size: 0
    .sgpr_count:     6
    .sgpr_spill_count: 0
    .symbol:         _ZN7rocprim17ROCPRIM_400000_NS6detail17trampoline_kernelINS0_14default_configENS1_25partition_config_selectorILNS1_17partition_subalgoE9EllbEEZZNS1_14partition_implILS5_9ELb0ES3_jPKlN6thrust23THRUST_200600_302600_NS17counting_iteratorIlNSB_11use_defaultESD_SD_EEPNS0_10empty_typeENS0_5tupleIJPlSF_EEENSH_IJSI_SG_EEENS0_18inequality_wrapperIN6hipcub16HIPCUB_304000_NS8EqualityEEESI_JSF_EEE10hipError_tPvRmT3_T4_T5_T6_T7_T9_mT8_P12ihipStream_tbDpT10_ENKUlT_T0_E_clISt17integral_constantIbLb0EES18_IbLb1EEEEDaS14_S15_EUlS14_E_NS1_11comp_targetILNS1_3genE10ELNS1_11target_archE1200ELNS1_3gpuE4ELNS1_3repE0EEENS1_30default_config_static_selectorELNS0_4arch9wavefront6targetE1EEEvT1_.kd
    .uniform_work_group_size: 1
    .uses_dynamic_stack: false
    .vgpr_count:     0
    .vgpr_spill_count: 0
    .wavefront_size: 64
  - .agpr_count:     0
    .args:
      - .offset:         0
        .size:           128
        .value_kind:     by_value
    .group_segment_fixed_size: 0
    .kernarg_segment_align: 8
    .kernarg_segment_size: 128
    .language:       OpenCL C
    .language_version:
      - 2
      - 0
    .max_flat_workgroup_size: 512
    .name:           _ZN7rocprim17ROCPRIM_400000_NS6detail17trampoline_kernelINS0_14default_configENS1_25partition_config_selectorILNS1_17partition_subalgoE9EllbEEZZNS1_14partition_implILS5_9ELb0ES3_jPKlN6thrust23THRUST_200600_302600_NS17counting_iteratorIlNSB_11use_defaultESD_SD_EEPNS0_10empty_typeENS0_5tupleIJPlSF_EEENSH_IJSI_SG_EEENS0_18inequality_wrapperIN6hipcub16HIPCUB_304000_NS8EqualityEEESI_JSF_EEE10hipError_tPvRmT3_T4_T5_T6_T7_T9_mT8_P12ihipStream_tbDpT10_ENKUlT_T0_E_clISt17integral_constantIbLb0EES18_IbLb1EEEEDaS14_S15_EUlS14_E_NS1_11comp_targetILNS1_3genE9ELNS1_11target_archE1100ELNS1_3gpuE3ELNS1_3repE0EEENS1_30default_config_static_selectorELNS0_4arch9wavefront6targetE1EEEvT1_
    .private_segment_fixed_size: 0
    .sgpr_count:     6
    .sgpr_spill_count: 0
    .symbol:         _ZN7rocprim17ROCPRIM_400000_NS6detail17trampoline_kernelINS0_14default_configENS1_25partition_config_selectorILNS1_17partition_subalgoE9EllbEEZZNS1_14partition_implILS5_9ELb0ES3_jPKlN6thrust23THRUST_200600_302600_NS17counting_iteratorIlNSB_11use_defaultESD_SD_EEPNS0_10empty_typeENS0_5tupleIJPlSF_EEENSH_IJSI_SG_EEENS0_18inequality_wrapperIN6hipcub16HIPCUB_304000_NS8EqualityEEESI_JSF_EEE10hipError_tPvRmT3_T4_T5_T6_T7_T9_mT8_P12ihipStream_tbDpT10_ENKUlT_T0_E_clISt17integral_constantIbLb0EES18_IbLb1EEEEDaS14_S15_EUlS14_E_NS1_11comp_targetILNS1_3genE9ELNS1_11target_archE1100ELNS1_3gpuE3ELNS1_3repE0EEENS1_30default_config_static_selectorELNS0_4arch9wavefront6targetE1EEEvT1_.kd
    .uniform_work_group_size: 1
    .uses_dynamic_stack: false
    .vgpr_count:     0
    .vgpr_spill_count: 0
    .wavefront_size: 64
  - .agpr_count:     0
    .args:
      - .offset:         0
        .size:           128
        .value_kind:     by_value
    .group_segment_fixed_size: 0
    .kernarg_segment_align: 8
    .kernarg_segment_size: 128
    .language:       OpenCL C
    .language_version:
      - 2
      - 0
    .max_flat_workgroup_size: 512
    .name:           _ZN7rocprim17ROCPRIM_400000_NS6detail17trampoline_kernelINS0_14default_configENS1_25partition_config_selectorILNS1_17partition_subalgoE9EllbEEZZNS1_14partition_implILS5_9ELb0ES3_jPKlN6thrust23THRUST_200600_302600_NS17counting_iteratorIlNSB_11use_defaultESD_SD_EEPNS0_10empty_typeENS0_5tupleIJPlSF_EEENSH_IJSI_SG_EEENS0_18inequality_wrapperIN6hipcub16HIPCUB_304000_NS8EqualityEEESI_JSF_EEE10hipError_tPvRmT3_T4_T5_T6_T7_T9_mT8_P12ihipStream_tbDpT10_ENKUlT_T0_E_clISt17integral_constantIbLb0EES18_IbLb1EEEEDaS14_S15_EUlS14_E_NS1_11comp_targetILNS1_3genE8ELNS1_11target_archE1030ELNS1_3gpuE2ELNS1_3repE0EEENS1_30default_config_static_selectorELNS0_4arch9wavefront6targetE1EEEvT1_
    .private_segment_fixed_size: 0
    .sgpr_count:     6
    .sgpr_spill_count: 0
    .symbol:         _ZN7rocprim17ROCPRIM_400000_NS6detail17trampoline_kernelINS0_14default_configENS1_25partition_config_selectorILNS1_17partition_subalgoE9EllbEEZZNS1_14partition_implILS5_9ELb0ES3_jPKlN6thrust23THRUST_200600_302600_NS17counting_iteratorIlNSB_11use_defaultESD_SD_EEPNS0_10empty_typeENS0_5tupleIJPlSF_EEENSH_IJSI_SG_EEENS0_18inequality_wrapperIN6hipcub16HIPCUB_304000_NS8EqualityEEESI_JSF_EEE10hipError_tPvRmT3_T4_T5_T6_T7_T9_mT8_P12ihipStream_tbDpT10_ENKUlT_T0_E_clISt17integral_constantIbLb0EES18_IbLb1EEEEDaS14_S15_EUlS14_E_NS1_11comp_targetILNS1_3genE8ELNS1_11target_archE1030ELNS1_3gpuE2ELNS1_3repE0EEENS1_30default_config_static_selectorELNS0_4arch9wavefront6targetE1EEEvT1_.kd
    .uniform_work_group_size: 1
    .uses_dynamic_stack: false
    .vgpr_count:     0
    .vgpr_spill_count: 0
    .wavefront_size: 64
  - .agpr_count:     0
    .args:
      - .address_space:  global
        .offset:         0
        .size:           8
        .value_kind:     global_buffer
      - .address_space:  global
        .offset:         8
        .size:           8
        .value_kind:     global_buffer
      - .address_space:  global
        .offset:         16
        .size:           8
        .value_kind:     global_buffer
      - .offset:         24
        .size:           8
        .value_kind:     by_value
      - .offset:         32
        .size:           4
        .value_kind:     hidden_block_count_x
      - .offset:         36
        .size:           4
        .value_kind:     hidden_block_count_y
      - .offset:         40
        .size:           4
        .value_kind:     hidden_block_count_z
      - .offset:         44
        .size:           2
        .value_kind:     hidden_group_size_x
      - .offset:         46
        .size:           2
        .value_kind:     hidden_group_size_y
      - .offset:         48
        .size:           2
        .value_kind:     hidden_group_size_z
      - .offset:         50
        .size:           2
        .value_kind:     hidden_remainder_x
      - .offset:         52
        .size:           2
        .value_kind:     hidden_remainder_y
      - .offset:         54
        .size:           2
        .value_kind:     hidden_remainder_z
      - .offset:         72
        .size:           8
        .value_kind:     hidden_global_offset_x
      - .offset:         80
        .size:           8
        .value_kind:     hidden_global_offset_y
      - .offset:         88
        .size:           8
        .value_kind:     hidden_global_offset_z
      - .offset:         96
        .size:           2
        .value_kind:     hidden_grid_dims
    .group_segment_fixed_size: 0
    .kernarg_segment_align: 8
    .kernarg_segment_size: 288
    .language:       OpenCL C
    .language_version:
      - 2
      - 0
    .max_flat_workgroup_size: 1024
    .name:           _ZN2at6native12_GLOBAL__N_124krn_partials_per_segmentIiEEvPT_PKS3_PKll
    .private_segment_fixed_size: 0
    .sgpr_count:     18
    .sgpr_spill_count: 0
    .symbol:         _ZN2at6native12_GLOBAL__N_124krn_partials_per_segmentIiEEvPT_PKS3_PKll.kd
    .uniform_work_group_size: 1
    .uses_dynamic_stack: false
    .vgpr_count:     15
    .vgpr_spill_count: 0
    .wavefront_size: 64
  - .agpr_count:     0
    .args:
      - .address_space:  global
        .offset:         0
        .size:           8
        .value_kind:     global_buffer
      - .address_space:  global
        .offset:         8
        .size:           8
        .value_kind:     global_buffer
      - .address_space:  global
        .offset:         16
        .size:           8
        .value_kind:     global_buffer
      - .address_space:  global
        .offset:         24
        .size:           8
        .value_kind:     global_buffer
    .group_segment_fixed_size: 0
    .kernarg_segment_align: 8
    .kernarg_segment_size: 32
    .language:       OpenCL C
    .language_version:
      - 2
      - 0
    .max_flat_workgroup_size: 1024
    .name:           _ZN2at6native12_GLOBAL__N_131compute_num_of_partial_segmentsIiEEvPKT_S5_PKlPl
    .private_segment_fixed_size: 0
    .sgpr_count:     15
    .sgpr_spill_count: 0
    .symbol:         _ZN2at6native12_GLOBAL__N_131compute_num_of_partial_segmentsIiEEvPKT_S5_PKlPl.kd
    .uniform_work_group_size: 1
    .uses_dynamic_stack: false
    .vgpr_count:     3
    .vgpr_spill_count: 0
    .wavefront_size: 64
  - .agpr_count:     0
    .args:
      - .address_space:  global
        .offset:         0
        .size:           8
        .value_kind:     global_buffer
      - .address_space:  global
        .offset:         8
        .size:           8
        .value_kind:     global_buffer
      - .address_space:  global
        .offset:         16
        .size:           8
        .value_kind:     global_buffer
      - .address_space:  global
        .offset:         24
        .size:           8
        .value_kind:     global_buffer
      - .address_space:  global
        .offset:         32
        .size:           8
        .value_kind:     global_buffer
      - .offset:         40
        .size:           4
        .value_kind:     hidden_block_count_x
      - .offset:         44
        .size:           4
        .value_kind:     hidden_block_count_y
      - .offset:         48
        .size:           4
        .value_kind:     hidden_block_count_z
      - .offset:         52
        .size:           2
        .value_kind:     hidden_group_size_x
      - .offset:         54
        .size:           2
        .value_kind:     hidden_group_size_y
      - .offset:         56
        .size:           2
        .value_kind:     hidden_group_size_z
      - .offset:         58
        .size:           2
        .value_kind:     hidden_remainder_x
      - .offset:         60
        .size:           2
        .value_kind:     hidden_remainder_y
      - .offset:         62
        .size:           2
        .value_kind:     hidden_remainder_z
      - .offset:         80
        .size:           8
        .value_kind:     hidden_global_offset_x
      - .offset:         88
        .size:           8
        .value_kind:     hidden_global_offset_y
      - .offset:         96
        .size:           8
        .value_kind:     hidden_global_offset_z
      - .offset:         104
        .size:           2
        .value_kind:     hidden_grid_dims
    .group_segment_fixed_size: 0
    .kernarg_segment_align: 8
    .kernarg_segment_size: 296
    .language:       OpenCL C
    .language_version:
      - 2
      - 0
    .max_flat_workgroup_size: 1024
    .name:           _ZN2at6native12_GLOBAL__N_126krn_partial_segment_offsetIiEEvPT_PKS3_S6_S6_PKl
    .private_segment_fixed_size: 0
    .sgpr_count:     16
    .sgpr_spill_count: 0
    .symbol:         _ZN2at6native12_GLOBAL__N_126krn_partial_segment_offsetIiEEvPT_PKS3_S6_S6_PKl.kd
    .uniform_work_group_size: 1
    .uses_dynamic_stack: false
    .vgpr_count:     18
    .vgpr_spill_count: 0
    .wavefront_size: 64
  - .agpr_count:     0
    .args:
      - .address_space:  global
        .offset:         0
        .size:           8
        .value_kind:     global_buffer
      - .address_space:  global
        .offset:         8
        .size:           8
        .value_kind:     global_buffer
      - .address_space:  global
        .offset:         16
        .size:           8
        .value_kind:     global_buffer
      - .address_space:  global
        .offset:         24
        .size:           8
        .value_kind:     global_buffer
      - .offset:         32
        .size:           4
        .value_kind:     hidden_block_count_x
      - .offset:         36
        .size:           4
        .value_kind:     hidden_block_count_y
      - .offset:         40
        .size:           4
        .value_kind:     hidden_block_count_z
      - .offset:         44
        .size:           2
        .value_kind:     hidden_group_size_x
      - .offset:         46
        .size:           2
        .value_kind:     hidden_group_size_y
      - .offset:         48
        .size:           2
        .value_kind:     hidden_group_size_z
      - .offset:         50
        .size:           2
        .value_kind:     hidden_remainder_x
      - .offset:         52
        .size:           2
        .value_kind:     hidden_remainder_y
      - .offset:         54
        .size:           2
        .value_kind:     hidden_remainder_z
      - .offset:         72
        .size:           8
        .value_kind:     hidden_global_offset_x
      - .offset:         80
        .size:           8
        .value_kind:     hidden_global_offset_y
      - .offset:         88
        .size:           8
        .value_kind:     hidden_global_offset_z
      - .offset:         96
        .size:           2
        .value_kind:     hidden_grid_dims
    .group_segment_fixed_size: 0
    .kernarg_segment_align: 8
    .kernarg_segment_size: 288
    .language:       OpenCL C
    .language_version:
      - 2
      - 0
    .max_flat_workgroup_size: 1024
    .name:           _ZN2at6native12_GLOBAL__N_126krn_partial_to_segment_idxIiEEvPT_PKS3_S6_PKl
    .private_segment_fixed_size: 0
    .sgpr_count:     18
    .sgpr_spill_count: 0
    .symbol:         _ZN2at6native12_GLOBAL__N_126krn_partial_to_segment_idxIiEEvPT_PKS3_S6_PKl.kd
    .uniform_work_group_size: 1
    .uses_dynamic_stack: false
    .vgpr_count:     10
    .vgpr_spill_count: 0
    .wavefront_size: 64
  - .agpr_count:     0
    .args:
      - .address_space:  global
        .offset:         0
        .size:           8
        .value_kind:     global_buffer
      - .address_space:  global
        .offset:         8
        .size:           8
        .value_kind:     global_buffer
      - .address_space:  global
        .offset:         16
        .size:           8
        .value_kind:     global_buffer
      - .offset:         24
        .size:           8
        .value_kind:     by_value
      - .offset:         32
        .size:           8
        .value_kind:     by_value
      - .address_space:  global
        .offset:         40
        .size:           8
        .value_kind:     global_buffer
      - .address_space:  global
        .offset:         48
        .size:           8
        .value_kind:     global_buffer
      - .address_space:  global
        .offset:         56
        .size:           8
        .value_kind:     global_buffer
      - .address_space:  global
        .offset:         64
        .size:           8
        .value_kind:     global_buffer
      - .address_space:  global
        .offset:         72
        .size:           8
        .value_kind:     global_buffer
      - .address_space:  global
        .offset:         80
        .size:           8
        .value_kind:     global_buffer
      - .offset:         88
        .size:           8
        .value_kind:     by_value
      - .offset:         96
        .size:           8
        .value_kind:     by_value
      - .offset:         104
        .size:           4
        .value_kind:     hidden_block_count_x
      - .offset:         108
        .size:           4
        .value_kind:     hidden_block_count_y
      - .offset:         112
        .size:           4
        .value_kind:     hidden_block_count_z
      - .offset:         116
        .size:           2
        .value_kind:     hidden_group_size_x
      - .offset:         118
        .size:           2
        .value_kind:     hidden_group_size_y
      - .offset:         120
        .size:           2
        .value_kind:     hidden_group_size_z
      - .offset:         122
        .size:           2
        .value_kind:     hidden_remainder_x
      - .offset:         124
        .size:           2
        .value_kind:     hidden_remainder_y
      - .offset:         126
        .size:           2
        .value_kind:     hidden_remainder_z
      - .offset:         144
        .size:           8
        .value_kind:     hidden_global_offset_x
      - .offset:         152
        .size:           8
        .value_kind:     hidden_global_offset_y
      - .offset:         160
        .size:           8
        .value_kind:     hidden_global_offset_z
      - .offset:         168
        .size:           2
        .value_kind:     hidden_grid_dims
    .group_segment_fixed_size: 0
    .kernarg_segment_align: 8
    .kernarg_segment_size: 360
    .language:       OpenCL C
    .language_version:
      - 2
      - 0
    .max_flat_workgroup_size: 1024
    .name:           _ZN2at6native12_GLOBAL__N_137compute_grad_weight_atomic_accumulateIddiEEvPKT1_PKT_S5_llS5_PKlS5_S5_S5_PT0_ll
    .private_segment_fixed_size: 0
    .sgpr_count:     34
    .sgpr_spill_count: 0
    .symbol:         _ZN2at6native12_GLOBAL__N_137compute_grad_weight_atomic_accumulateIddiEEvPKT1_PKT_S5_llS5_PKlS5_S5_S5_PT0_ll.kd
    .uniform_work_group_size: 1
    .uses_dynamic_stack: false
    .vgpr_count:     26
    .vgpr_spill_count: 0
    .wavefront_size: 64
  - .agpr_count:     0
    .args:
      - .address_space:  global
        .offset:         0
        .size:           8
        .value_kind:     global_buffer
      - .address_space:  global
        .offset:         8
        .size:           8
        .value_kind:     global_buffer
      - .address_space:  global
        .offset:         16
        .size:           8
        .value_kind:     global_buffer
      - .address_space:  global
        .offset:         24
        .size:           8
        .value_kind:     global_buffer
      - .offset:         32
        .size:           8
        .value_kind:     by_value
      - .offset:         40
        .size:           8
        .value_kind:     by_value
      - .offset:         48
        .size:           4
        .value_kind:     by_value
      - .address_space:  global
        .offset:         56
        .size:           8
        .value_kind:     global_buffer
      - .address_space:  global
        .offset:         64
        .size:           8
        .value_kind:     global_buffer
      - .offset:         72
        .size:           8
        .value_kind:     by_value
      - .address_space:  global
        .offset:         80
        .size:           8
        .value_kind:     global_buffer
      - .address_space:  global
        .offset:         88
        .size:           8
        .value_kind:     global_buffer
      - .address_space:  global
        .offset:         96
        .size:           8
        .value_kind:     global_buffer
      - .offset:         104
        .size:           8
        .value_kind:     by_value
      - .offset:         112
        .size:           4
        .value_kind:     hidden_block_count_x
      - .offset:         116
        .size:           4
        .value_kind:     hidden_block_count_y
      - .offset:         120
        .size:           4
        .value_kind:     hidden_block_count_z
      - .offset:         124
        .size:           2
        .value_kind:     hidden_group_size_x
      - .offset:         126
        .size:           2
        .value_kind:     hidden_group_size_y
      - .offset:         128
        .size:           2
        .value_kind:     hidden_group_size_z
      - .offset:         130
        .size:           2
        .value_kind:     hidden_remainder_x
      - .offset:         132
        .size:           2
        .value_kind:     hidden_remainder_y
      - .offset:         134
        .size:           2
        .value_kind:     hidden_remainder_z
      - .offset:         152
        .size:           8
        .value_kind:     hidden_global_offset_x
      - .offset:         160
        .size:           8
        .value_kind:     hidden_global_offset_y
      - .offset:         168
        .size:           8
        .value_kind:     hidden_global_offset_z
      - .offset:         176
        .size:           2
        .value_kind:     hidden_grid_dims
    .group_segment_fixed_size: 0
    .kernarg_segment_align: 8
    .kernarg_segment_size: 368
    .language:       OpenCL C
    .language_version:
      - 2
      - 0
    .max_flat_workgroup_size: 1024
    .name:           _ZN2at6native12_GLOBAL__N_124compute_grad_weight_bagsIdiEEvPKT0_PKT_S5_S5_lliS5_S8_lS5_PKlPNS_14AccumulateTypeIS6_Lb1EE4typeEl
    .private_segment_fixed_size: 0
    .sgpr_count:     34
    .sgpr_spill_count: 0
    .symbol:         _ZN2at6native12_GLOBAL__N_124compute_grad_weight_bagsIdiEEvPKT0_PKT_S5_S5_lliS5_S8_lS5_PKlPNS_14AccumulateTypeIS6_Lb1EE4typeEl.kd
    .uniform_work_group_size: 1
    .uses_dynamic_stack: false
    .vgpr_count:     30
    .vgpr_spill_count: 0
    .wavefront_size: 64
  - .agpr_count:     0
    .args:
      - .address_space:  global
        .offset:         0
        .size:           8
        .value_kind:     global_buffer
      - .address_space:  global
        .offset:         8
        .size:           8
        .value_kind:     global_buffer
      - .address_space:  global
        .offset:         16
        .size:           8
        .value_kind:     global_buffer
      - .offset:         24
        .size:           8
        .value_kind:     by_value
      - .offset:         32
        .size:           8
        .value_kind:     by_value
      - .address_space:  global
        .offset:         40
        .size:           8
        .value_kind:     global_buffer
      - .address_space:  global
        .offset:         48
        .size:           8
        .value_kind:     global_buffer
      - .address_space:  global
        .offset:         56
        .size:           8
        .value_kind:     global_buffer
      - .offset:         64
        .size:           8
        .value_kind:     by_value
      - .offset:         72
        .size:           4
        .value_kind:     hidden_block_count_x
      - .offset:         76
        .size:           4
        .value_kind:     hidden_block_count_y
      - .offset:         80
        .size:           4
        .value_kind:     hidden_block_count_z
      - .offset:         84
        .size:           2
        .value_kind:     hidden_group_size_x
      - .offset:         86
        .size:           2
        .value_kind:     hidden_group_size_y
      - .offset:         88
        .size:           2
        .value_kind:     hidden_group_size_z
      - .offset:         90
        .size:           2
        .value_kind:     hidden_remainder_x
      - .offset:         92
        .size:           2
        .value_kind:     hidden_remainder_y
      - .offset:         94
        .size:           2
        .value_kind:     hidden_remainder_z
      - .offset:         112
        .size:           8
        .value_kind:     hidden_global_offset_x
      - .offset:         120
        .size:           8
        .value_kind:     hidden_global_offset_y
      - .offset:         128
        .size:           8
        .value_kind:     hidden_global_offset_z
      - .offset:         136
        .size:           2
        .value_kind:     hidden_grid_dims
    .group_segment_fixed_size: 0
    .kernarg_segment_align: 8
    .kernarg_segment_size: 328
    .language:       OpenCL C
    .language_version:
      - 2
      - 0
    .max_flat_workgroup_size: 1024
    .name:           _ZN2at6native12_GLOBAL__N_119compute_grad_weightIdiEEvPKT0_PKT_S5_llS5_PKlPNS_14AccumulateTypeIS6_Lb1EE4typeEl
    .private_segment_fixed_size: 0
    .sgpr_count:     32
    .sgpr_spill_count: 0
    .symbol:         _ZN2at6native12_GLOBAL__N_119compute_grad_weightIdiEEvPKT0_PKT_S5_llS5_PKlPNS_14AccumulateTypeIS6_Lb1EE4typeEl.kd
    .uniform_work_group_size: 1
    .uses_dynamic_stack: false
    .vgpr_count:     26
    .vgpr_spill_count: 0
    .wavefront_size: 64
  - .agpr_count:     0
    .args:
      - .address_space:  global
        .offset:         0
        .size:           8
        .value_kind:     global_buffer
      - .address_space:  global
        .offset:         8
        .size:           8
        .value_kind:     global_buffer
      - .offset:         16
        .size:           8
        .value_kind:     by_value
      - .address_space:  global
        .offset:         24
        .size:           8
        .value_kind:     global_buffer
      - .address_space:  global
        .offset:         32
        .size:           8
        .value_kind:     global_buffer
      - .address_space:  global
        .offset:         40
        .size:           8
        .value_kind:     global_buffer
      - .address_space:  global
        .offset:         48
        .size:           8
        .value_kind:     global_buffer
      - .address_space:  global
        .offset:         56
        .size:           8
        .value_kind:     global_buffer
      - .offset:         64
        .size:           8
        .value_kind:     by_value
      - .offset:         72
        .size:           8
        .value_kind:     by_value
      - .offset:         80
        .size:           4
        .value_kind:     hidden_block_count_x
      - .offset:         84
        .size:           4
        .value_kind:     hidden_block_count_y
      - .offset:         88
        .size:           4
        .value_kind:     hidden_block_count_z
      - .offset:         92
        .size:           2
        .value_kind:     hidden_group_size_x
      - .offset:         94
        .size:           2
        .value_kind:     hidden_group_size_y
      - .offset:         96
        .size:           2
        .value_kind:     hidden_group_size_z
      - .offset:         98
        .size:           2
        .value_kind:     hidden_remainder_x
      - .offset:         100
        .size:           2
        .value_kind:     hidden_remainder_y
      - .offset:         102
        .size:           2
        .value_kind:     hidden_remainder_z
      - .offset:         120
        .size:           8
        .value_kind:     hidden_global_offset_x
      - .offset:         128
        .size:           8
        .value_kind:     hidden_global_offset_y
      - .offset:         136
        .size:           8
        .value_kind:     hidden_global_offset_z
      - .offset:         144
        .size:           2
        .value_kind:     hidden_grid_dims
    .group_segment_fixed_size: 0
    .kernarg_segment_align: 8
    .kernarg_segment_size: 336
    .language:       OpenCL C
    .language_version:
      - 2
      - 0
    .max_flat_workgroup_size: 1024
    .name:           _ZN2at6native12_GLOBAL__N_115sum_and_scatterIdiEEvPKT0_PT_lS5_PKlPKNS_14AccumulateTypeIS6_Lb1EE4typeES5_S9_ll
    .private_segment_fixed_size: 0
    .sgpr_count:     34
    .sgpr_spill_count: 0
    .symbol:         _ZN2at6native12_GLOBAL__N_115sum_and_scatterIdiEEvPKT0_PT_lS5_PKlPKNS_14AccumulateTypeIS6_Lb1EE4typeES5_S9_ll.kd
    .uniform_work_group_size: 1
    .uses_dynamic_stack: false
    .vgpr_count:     14
    .vgpr_spill_count: 0
    .wavefront_size: 64
  - .agpr_count:     0
    .args:
      - .address_space:  global
        .offset:         0
        .size:           8
        .value_kind:     global_buffer
      - .address_space:  global
        .offset:         8
        .size:           8
        .value_kind:     global_buffer
      - .address_space:  global
        .offset:         16
        .size:           8
        .value_kind:     global_buffer
      - .offset:         24
        .size:           8
        .value_kind:     by_value
      - .offset:         32
        .size:           8
        .value_kind:     by_value
      - .address_space:  global
        .offset:         40
        .size:           8
        .value_kind:     global_buffer
      - .address_space:  global
        .offset:         48
        .size:           8
        .value_kind:     global_buffer
      - .address_space:  global
        .offset:         56
        .size:           8
        .value_kind:     global_buffer
      - .address_space:  global
        .offset:         64
        .size:           8
        .value_kind:     global_buffer
      - .address_space:  global
        .offset:         72
        .size:           8
        .value_kind:     global_buffer
      - .address_space:  global
        .offset:         80
        .size:           8
        .value_kind:     global_buffer
      - .offset:         88
        .size:           8
        .value_kind:     by_value
      - .offset:         96
        .size:           8
        .value_kind:     by_value
      - .offset:         104
        .size:           4
        .value_kind:     hidden_block_count_x
      - .offset:         108
        .size:           4
        .value_kind:     hidden_block_count_y
      - .offset:         112
        .size:           4
        .value_kind:     hidden_block_count_z
      - .offset:         116
        .size:           2
        .value_kind:     hidden_group_size_x
      - .offset:         118
        .size:           2
        .value_kind:     hidden_group_size_y
      - .offset:         120
        .size:           2
        .value_kind:     hidden_group_size_z
      - .offset:         122
        .size:           2
        .value_kind:     hidden_remainder_x
      - .offset:         124
        .size:           2
        .value_kind:     hidden_remainder_y
      - .offset:         126
        .size:           2
        .value_kind:     hidden_remainder_z
      - .offset:         144
        .size:           8
        .value_kind:     hidden_global_offset_x
      - .offset:         152
        .size:           8
        .value_kind:     hidden_global_offset_y
      - .offset:         160
        .size:           8
        .value_kind:     hidden_global_offset_z
      - .offset:         168
        .size:           2
        .value_kind:     hidden_grid_dims
    .group_segment_fixed_size: 0
    .kernarg_segment_align: 8
    .kernarg_segment_size: 360
    .language:       OpenCL C
    .language_version:
      - 2
      - 0
    .max_flat_workgroup_size: 1024
    .name:           _ZN2at6native12_GLOBAL__N_137compute_grad_weight_atomic_accumulateIffiEEvPKT1_PKT_S5_llS5_PKlS5_S5_S5_PT0_ll
    .private_segment_fixed_size: 0
    .sgpr_count:     34
    .sgpr_spill_count: 0
    .symbol:         _ZN2at6native12_GLOBAL__N_137compute_grad_weight_atomic_accumulateIffiEEvPKT1_PKT_S5_llS5_PKlS5_S5_S5_PT0_ll.kd
    .uniform_work_group_size: 1
    .uses_dynamic_stack: false
    .vgpr_count:     20
    .vgpr_spill_count: 0
    .wavefront_size: 64
  - .agpr_count:     0
    .args:
      - .address_space:  global
        .offset:         0
        .size:           8
        .value_kind:     global_buffer
      - .address_space:  global
        .offset:         8
        .size:           8
        .value_kind:     global_buffer
      - .address_space:  global
        .offset:         16
        .size:           8
        .value_kind:     global_buffer
      - .address_space:  global
        .offset:         24
        .size:           8
        .value_kind:     global_buffer
      - .offset:         32
        .size:           8
        .value_kind:     by_value
      - .offset:         40
        .size:           8
        .value_kind:     by_value
      - .offset:         48
        .size:           4
        .value_kind:     by_value
      - .address_space:  global
        .offset:         56
        .size:           8
        .value_kind:     global_buffer
      - .address_space:  global
        .offset:         64
        .size:           8
        .value_kind:     global_buffer
      - .offset:         72
        .size:           8
        .value_kind:     by_value
      - .address_space:  global
        .offset:         80
        .size:           8
        .value_kind:     global_buffer
      - .address_space:  global
        .offset:         88
        .size:           8
        .value_kind:     global_buffer
      - .address_space:  global
        .offset:         96
        .size:           8
        .value_kind:     global_buffer
      - .offset:         104
        .size:           8
        .value_kind:     by_value
      - .offset:         112
        .size:           4
        .value_kind:     hidden_block_count_x
      - .offset:         116
        .size:           4
        .value_kind:     hidden_block_count_y
      - .offset:         120
        .size:           4
        .value_kind:     hidden_block_count_z
      - .offset:         124
        .size:           2
        .value_kind:     hidden_group_size_x
      - .offset:         126
        .size:           2
        .value_kind:     hidden_group_size_y
      - .offset:         128
        .size:           2
        .value_kind:     hidden_group_size_z
      - .offset:         130
        .size:           2
        .value_kind:     hidden_remainder_x
      - .offset:         132
        .size:           2
        .value_kind:     hidden_remainder_y
      - .offset:         134
        .size:           2
        .value_kind:     hidden_remainder_z
      - .offset:         152
        .size:           8
        .value_kind:     hidden_global_offset_x
      - .offset:         160
        .size:           8
        .value_kind:     hidden_global_offset_y
      - .offset:         168
        .size:           8
        .value_kind:     hidden_global_offset_z
      - .offset:         176
        .size:           2
        .value_kind:     hidden_grid_dims
    .group_segment_fixed_size: 0
    .kernarg_segment_align: 8
    .kernarg_segment_size: 368
    .language:       OpenCL C
    .language_version:
      - 2
      - 0
    .max_flat_workgroup_size: 1024
    .name:           _ZN2at6native12_GLOBAL__N_124compute_grad_weight_bagsIfiEEvPKT0_PKT_S5_S5_lliS5_S8_lS5_PKlPNS_14AccumulateTypeIS6_Lb1EE4typeEl
    .private_segment_fixed_size: 0
    .sgpr_count:     34
    .sgpr_spill_count: 0
    .symbol:         _ZN2at6native12_GLOBAL__N_124compute_grad_weight_bagsIfiEEvPKT0_PKT_S5_S5_lliS5_S8_lS5_PKlPNS_14AccumulateTypeIS6_Lb1EE4typeEl.kd
    .uniform_work_group_size: 1
    .uses_dynamic_stack: false
    .vgpr_count:     28
    .vgpr_spill_count: 0
    .wavefront_size: 64
  - .agpr_count:     0
    .args:
      - .address_space:  global
        .offset:         0
        .size:           8
        .value_kind:     global_buffer
      - .address_space:  global
        .offset:         8
        .size:           8
        .value_kind:     global_buffer
      - .address_space:  global
        .offset:         16
        .size:           8
        .value_kind:     global_buffer
      - .offset:         24
        .size:           8
        .value_kind:     by_value
      - .offset:         32
        .size:           8
        .value_kind:     by_value
      - .address_space:  global
        .offset:         40
        .size:           8
        .value_kind:     global_buffer
      - .address_space:  global
        .offset:         48
        .size:           8
        .value_kind:     global_buffer
      - .address_space:  global
        .offset:         56
        .size:           8
        .value_kind:     global_buffer
      - .offset:         64
        .size:           8
        .value_kind:     by_value
      - .offset:         72
        .size:           4
        .value_kind:     hidden_block_count_x
      - .offset:         76
        .size:           4
        .value_kind:     hidden_block_count_y
      - .offset:         80
        .size:           4
        .value_kind:     hidden_block_count_z
      - .offset:         84
        .size:           2
        .value_kind:     hidden_group_size_x
      - .offset:         86
        .size:           2
        .value_kind:     hidden_group_size_y
      - .offset:         88
        .size:           2
        .value_kind:     hidden_group_size_z
      - .offset:         90
        .size:           2
        .value_kind:     hidden_remainder_x
      - .offset:         92
        .size:           2
        .value_kind:     hidden_remainder_y
      - .offset:         94
        .size:           2
        .value_kind:     hidden_remainder_z
      - .offset:         112
        .size:           8
        .value_kind:     hidden_global_offset_x
      - .offset:         120
        .size:           8
        .value_kind:     hidden_global_offset_y
      - .offset:         128
        .size:           8
        .value_kind:     hidden_global_offset_z
      - .offset:         136
        .size:           2
        .value_kind:     hidden_grid_dims
    .group_segment_fixed_size: 0
    .kernarg_segment_align: 8
    .kernarg_segment_size: 328
    .language:       OpenCL C
    .language_version:
      - 2
      - 0
    .max_flat_workgroup_size: 1024
    .name:           _ZN2at6native12_GLOBAL__N_119compute_grad_weightIfiEEvPKT0_PKT_S5_llS5_PKlPNS_14AccumulateTypeIS6_Lb1EE4typeEl
    .private_segment_fixed_size: 0
    .sgpr_count:     32
    .sgpr_spill_count: 0
    .symbol:         _ZN2at6native12_GLOBAL__N_119compute_grad_weightIfiEEvPKT0_PKT_S5_llS5_PKlPNS_14AccumulateTypeIS6_Lb1EE4typeEl.kd
    .uniform_work_group_size: 1
    .uses_dynamic_stack: false
    .vgpr_count:     20
    .vgpr_spill_count: 0
    .wavefront_size: 64
  - .agpr_count:     0
    .args:
      - .address_space:  global
        .offset:         0
        .size:           8
        .value_kind:     global_buffer
      - .address_space:  global
        .offset:         8
        .size:           8
        .value_kind:     global_buffer
      - .offset:         16
        .size:           8
        .value_kind:     by_value
      - .address_space:  global
        .offset:         24
        .size:           8
        .value_kind:     global_buffer
      - .address_space:  global
        .offset:         32
        .size:           8
        .value_kind:     global_buffer
      - .address_space:  global
        .offset:         40
        .size:           8
        .value_kind:     global_buffer
      - .address_space:  global
        .offset:         48
        .size:           8
        .value_kind:     global_buffer
      - .address_space:  global
        .offset:         56
        .size:           8
        .value_kind:     global_buffer
      - .offset:         64
        .size:           8
        .value_kind:     by_value
      - .offset:         72
        .size:           8
        .value_kind:     by_value
      - .offset:         80
        .size:           4
        .value_kind:     hidden_block_count_x
      - .offset:         84
        .size:           4
        .value_kind:     hidden_block_count_y
      - .offset:         88
        .size:           4
        .value_kind:     hidden_block_count_z
      - .offset:         92
        .size:           2
        .value_kind:     hidden_group_size_x
      - .offset:         94
        .size:           2
        .value_kind:     hidden_group_size_y
      - .offset:         96
        .size:           2
        .value_kind:     hidden_group_size_z
      - .offset:         98
        .size:           2
        .value_kind:     hidden_remainder_x
      - .offset:         100
        .size:           2
        .value_kind:     hidden_remainder_y
      - .offset:         102
        .size:           2
        .value_kind:     hidden_remainder_z
      - .offset:         120
        .size:           8
        .value_kind:     hidden_global_offset_x
      - .offset:         128
        .size:           8
        .value_kind:     hidden_global_offset_y
      - .offset:         136
        .size:           8
        .value_kind:     hidden_global_offset_z
      - .offset:         144
        .size:           2
        .value_kind:     hidden_grid_dims
    .group_segment_fixed_size: 0
    .kernarg_segment_align: 8
    .kernarg_segment_size: 336
    .language:       OpenCL C
    .language_version:
      - 2
      - 0
    .max_flat_workgroup_size: 1024
    .name:           _ZN2at6native12_GLOBAL__N_115sum_and_scatterIfiEEvPKT0_PT_lS5_PKlPKNS_14AccumulateTypeIS6_Lb1EE4typeES5_S9_ll
    .private_segment_fixed_size: 0
    .sgpr_count:     34
    .sgpr_spill_count: 0
    .symbol:         _ZN2at6native12_GLOBAL__N_115sum_and_scatterIfiEEvPKT0_PT_lS5_PKlPKNS_14AccumulateTypeIS6_Lb1EE4typeES5_S9_ll.kd
    .uniform_work_group_size: 1
    .uses_dynamic_stack: false
    .vgpr_count:     14
    .vgpr_spill_count: 0
    .wavefront_size: 64
  - .agpr_count:     0
    .args:
      - .address_space:  global
        .offset:         0
        .size:           8
        .value_kind:     global_buffer
      - .address_space:  global
        .offset:         8
        .size:           8
        .value_kind:     global_buffer
      - .address_space:  global
        .offset:         16
        .size:           8
        .value_kind:     global_buffer
      - .offset:         24
        .size:           8
        .value_kind:     by_value
      - .offset:         32
        .size:           8
        .value_kind:     by_value
      - .address_space:  global
        .offset:         40
        .size:           8
        .value_kind:     global_buffer
      - .address_space:  global
        .offset:         48
        .size:           8
        .value_kind:     global_buffer
      - .address_space:  global
        .offset:         56
        .size:           8
        .value_kind:     global_buffer
      - .address_space:  global
        .offset:         64
        .size:           8
        .value_kind:     global_buffer
      - .address_space:  global
        .offset:         72
        .size:           8
        .value_kind:     global_buffer
      - .address_space:  global
        .offset:         80
        .size:           8
        .value_kind:     global_buffer
      - .offset:         88
        .size:           8
        .value_kind:     by_value
      - .offset:         96
        .size:           8
        .value_kind:     by_value
      - .offset:         104
        .size:           4
        .value_kind:     hidden_block_count_x
      - .offset:         108
        .size:           4
        .value_kind:     hidden_block_count_y
      - .offset:         112
        .size:           4
        .value_kind:     hidden_block_count_z
      - .offset:         116
        .size:           2
        .value_kind:     hidden_group_size_x
      - .offset:         118
        .size:           2
        .value_kind:     hidden_group_size_y
      - .offset:         120
        .size:           2
        .value_kind:     hidden_group_size_z
      - .offset:         122
        .size:           2
        .value_kind:     hidden_remainder_x
      - .offset:         124
        .size:           2
        .value_kind:     hidden_remainder_y
      - .offset:         126
        .size:           2
        .value_kind:     hidden_remainder_z
      - .offset:         144
        .size:           8
        .value_kind:     hidden_global_offset_x
      - .offset:         152
        .size:           8
        .value_kind:     hidden_global_offset_y
      - .offset:         160
        .size:           8
        .value_kind:     hidden_global_offset_z
      - .offset:         168
        .size:           2
        .value_kind:     hidden_grid_dims
    .group_segment_fixed_size: 0
    .kernarg_segment_align: 8
    .kernarg_segment_size: 360
    .language:       OpenCL C
    .language_version:
      - 2
      - 0
    .max_flat_workgroup_size: 1024
    .name:           _ZN2at6native12_GLOBAL__N_137compute_grad_weight_atomic_accumulateIN3c104HalfEfiEEvPKT1_PKT_S7_llS7_PKlS7_S7_S7_PT0_ll
    .private_segment_fixed_size: 0
    .sgpr_count:     34
    .sgpr_spill_count: 0
    .symbol:         _ZN2at6native12_GLOBAL__N_137compute_grad_weight_atomic_accumulateIN3c104HalfEfiEEvPKT1_PKT_S7_llS7_PKlS7_S7_S7_PT0_ll.kd
    .uniform_work_group_size: 1
    .uses_dynamic_stack: false
    .vgpr_count:     20
    .vgpr_spill_count: 0
    .wavefront_size: 64
  - .agpr_count:     0
    .args:
      - .address_space:  global
        .offset:         0
        .size:           8
        .value_kind:     global_buffer
      - .address_space:  global
        .offset:         8
        .size:           8
        .value_kind:     global_buffer
      - .address_space:  global
        .offset:         16
        .size:           8
        .value_kind:     global_buffer
      - .address_space:  global
        .offset:         24
        .size:           8
        .value_kind:     global_buffer
      - .offset:         32
        .size:           8
        .value_kind:     by_value
      - .offset:         40
        .size:           8
        .value_kind:     by_value
      - .offset:         48
        .size:           4
        .value_kind:     by_value
      - .address_space:  global
        .offset:         56
        .size:           8
        .value_kind:     global_buffer
      - .address_space:  global
        .offset:         64
        .size:           8
        .value_kind:     global_buffer
      - .offset:         72
        .size:           8
        .value_kind:     by_value
      - .address_space:  global
        .offset:         80
        .size:           8
        .value_kind:     global_buffer
      - .address_space:  global
        .offset:         88
        .size:           8
        .value_kind:     global_buffer
      - .address_space:  global
        .offset:         96
        .size:           8
        .value_kind:     global_buffer
      - .offset:         104
        .size:           8
        .value_kind:     by_value
      - .offset:         112
        .size:           4
        .value_kind:     hidden_block_count_x
      - .offset:         116
        .size:           4
        .value_kind:     hidden_block_count_y
      - .offset:         120
        .size:           4
        .value_kind:     hidden_block_count_z
      - .offset:         124
        .size:           2
        .value_kind:     hidden_group_size_x
      - .offset:         126
        .size:           2
        .value_kind:     hidden_group_size_y
      - .offset:         128
        .size:           2
        .value_kind:     hidden_group_size_z
      - .offset:         130
        .size:           2
        .value_kind:     hidden_remainder_x
      - .offset:         132
        .size:           2
        .value_kind:     hidden_remainder_y
      - .offset:         134
        .size:           2
        .value_kind:     hidden_remainder_z
      - .offset:         152
        .size:           8
        .value_kind:     hidden_global_offset_x
      - .offset:         160
        .size:           8
        .value_kind:     hidden_global_offset_y
      - .offset:         168
        .size:           8
        .value_kind:     hidden_global_offset_z
      - .offset:         176
        .size:           2
        .value_kind:     hidden_grid_dims
    .group_segment_fixed_size: 0
    .kernarg_segment_align: 8
    .kernarg_segment_size: 368
    .language:       OpenCL C
    .language_version:
      - 2
      - 0
    .max_flat_workgroup_size: 1024
    .name:           _ZN2at6native12_GLOBAL__N_124compute_grad_weight_bagsIN3c104HalfEiEEvPKT0_PKT_S7_S7_lliS7_SA_lS7_PKlPNS_14AccumulateTypeIS8_Lb1EE4typeEl
    .private_segment_fixed_size: 0
    .sgpr_count:     34
    .sgpr_spill_count: 0
    .symbol:         _ZN2at6native12_GLOBAL__N_124compute_grad_weight_bagsIN3c104HalfEiEEvPKT0_PKT_S7_S7_lliS7_SA_lS7_PKlPNS_14AccumulateTypeIS8_Lb1EE4typeEl.kd
    .uniform_work_group_size: 1
    .uses_dynamic_stack: false
    .vgpr_count:     28
    .vgpr_spill_count: 0
    .wavefront_size: 64
  - .agpr_count:     0
    .args:
      - .address_space:  global
        .offset:         0
        .size:           8
        .value_kind:     global_buffer
      - .address_space:  global
        .offset:         8
        .size:           8
        .value_kind:     global_buffer
      - .address_space:  global
        .offset:         16
        .size:           8
        .value_kind:     global_buffer
      - .offset:         24
        .size:           8
        .value_kind:     by_value
      - .offset:         32
        .size:           8
        .value_kind:     by_value
      - .address_space:  global
        .offset:         40
        .size:           8
        .value_kind:     global_buffer
      - .address_space:  global
        .offset:         48
        .size:           8
        .value_kind:     global_buffer
      - .address_space:  global
        .offset:         56
        .size:           8
        .value_kind:     global_buffer
      - .offset:         64
        .size:           8
        .value_kind:     by_value
      - .offset:         72
        .size:           4
        .value_kind:     hidden_block_count_x
      - .offset:         76
        .size:           4
        .value_kind:     hidden_block_count_y
      - .offset:         80
        .size:           4
        .value_kind:     hidden_block_count_z
      - .offset:         84
        .size:           2
        .value_kind:     hidden_group_size_x
      - .offset:         86
        .size:           2
        .value_kind:     hidden_group_size_y
      - .offset:         88
        .size:           2
        .value_kind:     hidden_group_size_z
      - .offset:         90
        .size:           2
        .value_kind:     hidden_remainder_x
      - .offset:         92
        .size:           2
        .value_kind:     hidden_remainder_y
      - .offset:         94
        .size:           2
        .value_kind:     hidden_remainder_z
      - .offset:         112
        .size:           8
        .value_kind:     hidden_global_offset_x
      - .offset:         120
        .size:           8
        .value_kind:     hidden_global_offset_y
      - .offset:         128
        .size:           8
        .value_kind:     hidden_global_offset_z
      - .offset:         136
        .size:           2
        .value_kind:     hidden_grid_dims
    .group_segment_fixed_size: 0
    .kernarg_segment_align: 8
    .kernarg_segment_size: 328
    .language:       OpenCL C
    .language_version:
      - 2
      - 0
    .max_flat_workgroup_size: 1024
    .name:           _ZN2at6native12_GLOBAL__N_119compute_grad_weightIN3c104HalfEiEEvPKT0_PKT_S7_llS7_PKlPNS_14AccumulateTypeIS8_Lb1EE4typeEl
    .private_segment_fixed_size: 0
    .sgpr_count:     32
    .sgpr_spill_count: 0
    .symbol:         _ZN2at6native12_GLOBAL__N_119compute_grad_weightIN3c104HalfEiEEvPKT0_PKT_S7_llS7_PKlPNS_14AccumulateTypeIS8_Lb1EE4typeEl.kd
    .uniform_work_group_size: 1
    .uses_dynamic_stack: false
    .vgpr_count:     20
    .vgpr_spill_count: 0
    .wavefront_size: 64
  - .agpr_count:     0
    .args:
      - .address_space:  global
        .offset:         0
        .size:           8
        .value_kind:     global_buffer
      - .address_space:  global
        .offset:         8
        .size:           8
        .value_kind:     global_buffer
      - .offset:         16
        .size:           8
        .value_kind:     by_value
      - .address_space:  global
        .offset:         24
        .size:           8
        .value_kind:     global_buffer
      - .address_space:  global
        .offset:         32
        .size:           8
        .value_kind:     global_buffer
      - .address_space:  global
        .offset:         40
        .size:           8
        .value_kind:     global_buffer
      - .address_space:  global
        .offset:         48
        .size:           8
        .value_kind:     global_buffer
      - .address_space:  global
        .offset:         56
        .size:           8
        .value_kind:     global_buffer
      - .offset:         64
        .size:           8
        .value_kind:     by_value
      - .offset:         72
        .size:           8
        .value_kind:     by_value
      - .offset:         80
        .size:           4
        .value_kind:     hidden_block_count_x
      - .offset:         84
        .size:           4
        .value_kind:     hidden_block_count_y
      - .offset:         88
        .size:           4
        .value_kind:     hidden_block_count_z
      - .offset:         92
        .size:           2
        .value_kind:     hidden_group_size_x
      - .offset:         94
        .size:           2
        .value_kind:     hidden_group_size_y
      - .offset:         96
        .size:           2
        .value_kind:     hidden_group_size_z
      - .offset:         98
        .size:           2
        .value_kind:     hidden_remainder_x
      - .offset:         100
        .size:           2
        .value_kind:     hidden_remainder_y
      - .offset:         102
        .size:           2
        .value_kind:     hidden_remainder_z
      - .offset:         120
        .size:           8
        .value_kind:     hidden_global_offset_x
      - .offset:         128
        .size:           8
        .value_kind:     hidden_global_offset_y
      - .offset:         136
        .size:           8
        .value_kind:     hidden_global_offset_z
      - .offset:         144
        .size:           2
        .value_kind:     hidden_grid_dims
    .group_segment_fixed_size: 0
    .kernarg_segment_align: 8
    .kernarg_segment_size: 336
    .language:       OpenCL C
    .language_version:
      - 2
      - 0
    .max_flat_workgroup_size: 1024
    .name:           _ZN2at6native12_GLOBAL__N_115sum_and_scatterIN3c104HalfEiEEvPKT0_PT_lS7_PKlPKNS_14AccumulateTypeIS8_Lb1EE4typeES7_SB_ll
    .private_segment_fixed_size: 0
    .sgpr_count:     34
    .sgpr_spill_count: 0
    .symbol:         _ZN2at6native12_GLOBAL__N_115sum_and_scatterIN3c104HalfEiEEvPKT0_PT_lS7_PKlPKNS_14AccumulateTypeIS8_Lb1EE4typeES7_SB_ll.kd
    .uniform_work_group_size: 1
    .uses_dynamic_stack: false
    .vgpr_count:     14
    .vgpr_spill_count: 0
    .wavefront_size: 64
  - .agpr_count:     0
    .args:
      - .address_space:  global
        .offset:         0
        .size:           8
        .value_kind:     global_buffer
      - .address_space:  global
        .offset:         8
        .size:           8
        .value_kind:     global_buffer
      - .address_space:  global
        .offset:         16
        .size:           8
        .value_kind:     global_buffer
      - .offset:         24
        .size:           8
        .value_kind:     by_value
      - .offset:         32
        .size:           8
        .value_kind:     by_value
      - .address_space:  global
        .offset:         40
        .size:           8
        .value_kind:     global_buffer
      - .address_space:  global
        .offset:         48
        .size:           8
        .value_kind:     global_buffer
      - .address_space:  global
        .offset:         56
        .size:           8
        .value_kind:     global_buffer
      - .address_space:  global
        .offset:         64
        .size:           8
        .value_kind:     global_buffer
      - .address_space:  global
        .offset:         72
        .size:           8
        .value_kind:     global_buffer
      - .address_space:  global
        .offset:         80
        .size:           8
        .value_kind:     global_buffer
      - .offset:         88
        .size:           8
        .value_kind:     by_value
      - .offset:         96
        .size:           8
        .value_kind:     by_value
      - .offset:         104
        .size:           4
        .value_kind:     hidden_block_count_x
      - .offset:         108
        .size:           4
        .value_kind:     hidden_block_count_y
      - .offset:         112
        .size:           4
        .value_kind:     hidden_block_count_z
      - .offset:         116
        .size:           2
        .value_kind:     hidden_group_size_x
      - .offset:         118
        .size:           2
        .value_kind:     hidden_group_size_y
      - .offset:         120
        .size:           2
        .value_kind:     hidden_group_size_z
      - .offset:         122
        .size:           2
        .value_kind:     hidden_remainder_x
      - .offset:         124
        .size:           2
        .value_kind:     hidden_remainder_y
      - .offset:         126
        .size:           2
        .value_kind:     hidden_remainder_z
      - .offset:         144
        .size:           8
        .value_kind:     hidden_global_offset_x
      - .offset:         152
        .size:           8
        .value_kind:     hidden_global_offset_y
      - .offset:         160
        .size:           8
        .value_kind:     hidden_global_offset_z
      - .offset:         168
        .size:           2
        .value_kind:     hidden_grid_dims
    .group_segment_fixed_size: 0
    .kernarg_segment_align: 8
    .kernarg_segment_size: 360
    .language:       OpenCL C
    .language_version:
      - 2
      - 0
    .max_flat_workgroup_size: 1024
    .name:           _ZN2at6native12_GLOBAL__N_137compute_grad_weight_atomic_accumulateIN3c108BFloat16EfiEEvPKT1_PKT_S7_llS7_PKlS7_S7_S7_PT0_ll
    .private_segment_fixed_size: 0
    .sgpr_count:     34
    .sgpr_spill_count: 0
    .symbol:         _ZN2at6native12_GLOBAL__N_137compute_grad_weight_atomic_accumulateIN3c108BFloat16EfiEEvPKT1_PKT_S7_llS7_PKlS7_S7_S7_PT0_ll.kd
    .uniform_work_group_size: 1
    .uses_dynamic_stack: false
    .vgpr_count:     20
    .vgpr_spill_count: 0
    .wavefront_size: 64
  - .agpr_count:     0
    .args:
      - .address_space:  global
        .offset:         0
        .size:           8
        .value_kind:     global_buffer
      - .address_space:  global
        .offset:         8
        .size:           8
        .value_kind:     global_buffer
      - .address_space:  global
        .offset:         16
        .size:           8
        .value_kind:     global_buffer
      - .address_space:  global
        .offset:         24
        .size:           8
        .value_kind:     global_buffer
      - .offset:         32
        .size:           8
        .value_kind:     by_value
      - .offset:         40
        .size:           8
        .value_kind:     by_value
      - .offset:         48
        .size:           4
        .value_kind:     by_value
      - .address_space:  global
        .offset:         56
        .size:           8
        .value_kind:     global_buffer
      - .address_space:  global
        .offset:         64
        .size:           8
        .value_kind:     global_buffer
      - .offset:         72
        .size:           8
        .value_kind:     by_value
      - .address_space:  global
        .offset:         80
        .size:           8
        .value_kind:     global_buffer
      - .address_space:  global
        .offset:         88
        .size:           8
        .value_kind:     global_buffer
      - .address_space:  global
        .offset:         96
        .size:           8
        .value_kind:     global_buffer
      - .offset:         104
        .size:           8
        .value_kind:     by_value
      - .offset:         112
        .size:           4
        .value_kind:     hidden_block_count_x
      - .offset:         116
        .size:           4
        .value_kind:     hidden_block_count_y
      - .offset:         120
        .size:           4
        .value_kind:     hidden_block_count_z
      - .offset:         124
        .size:           2
        .value_kind:     hidden_group_size_x
      - .offset:         126
        .size:           2
        .value_kind:     hidden_group_size_y
      - .offset:         128
        .size:           2
        .value_kind:     hidden_group_size_z
      - .offset:         130
        .size:           2
        .value_kind:     hidden_remainder_x
      - .offset:         132
        .size:           2
        .value_kind:     hidden_remainder_y
      - .offset:         134
        .size:           2
        .value_kind:     hidden_remainder_z
      - .offset:         152
        .size:           8
        .value_kind:     hidden_global_offset_x
      - .offset:         160
        .size:           8
        .value_kind:     hidden_global_offset_y
      - .offset:         168
        .size:           8
        .value_kind:     hidden_global_offset_z
      - .offset:         176
        .size:           2
        .value_kind:     hidden_grid_dims
    .group_segment_fixed_size: 0
    .kernarg_segment_align: 8
    .kernarg_segment_size: 368
    .language:       OpenCL C
    .language_version:
      - 2
      - 0
    .max_flat_workgroup_size: 1024
    .name:           _ZN2at6native12_GLOBAL__N_124compute_grad_weight_bagsIN3c108BFloat16EiEEvPKT0_PKT_S7_S7_lliS7_SA_lS7_PKlPNS_14AccumulateTypeIS8_Lb1EE4typeEl
    .private_segment_fixed_size: 0
    .sgpr_count:     34
    .sgpr_spill_count: 0
    .symbol:         _ZN2at6native12_GLOBAL__N_124compute_grad_weight_bagsIN3c108BFloat16EiEEvPKT0_PKT_S7_S7_lliS7_SA_lS7_PKlPNS_14AccumulateTypeIS8_Lb1EE4typeEl.kd
    .uniform_work_group_size: 1
    .uses_dynamic_stack: false
    .vgpr_count:     28
    .vgpr_spill_count: 0
    .wavefront_size: 64
  - .agpr_count:     0
    .args:
      - .address_space:  global
        .offset:         0
        .size:           8
        .value_kind:     global_buffer
      - .address_space:  global
        .offset:         8
        .size:           8
        .value_kind:     global_buffer
      - .address_space:  global
        .offset:         16
        .size:           8
        .value_kind:     global_buffer
      - .offset:         24
        .size:           8
        .value_kind:     by_value
      - .offset:         32
        .size:           8
        .value_kind:     by_value
      - .address_space:  global
        .offset:         40
        .size:           8
        .value_kind:     global_buffer
      - .address_space:  global
        .offset:         48
        .size:           8
        .value_kind:     global_buffer
      - .address_space:  global
        .offset:         56
        .size:           8
        .value_kind:     global_buffer
      - .offset:         64
        .size:           8
        .value_kind:     by_value
      - .offset:         72
        .size:           4
        .value_kind:     hidden_block_count_x
      - .offset:         76
        .size:           4
        .value_kind:     hidden_block_count_y
      - .offset:         80
        .size:           4
        .value_kind:     hidden_block_count_z
      - .offset:         84
        .size:           2
        .value_kind:     hidden_group_size_x
      - .offset:         86
        .size:           2
        .value_kind:     hidden_group_size_y
      - .offset:         88
        .size:           2
        .value_kind:     hidden_group_size_z
      - .offset:         90
        .size:           2
        .value_kind:     hidden_remainder_x
      - .offset:         92
        .size:           2
        .value_kind:     hidden_remainder_y
      - .offset:         94
        .size:           2
        .value_kind:     hidden_remainder_z
      - .offset:         112
        .size:           8
        .value_kind:     hidden_global_offset_x
      - .offset:         120
        .size:           8
        .value_kind:     hidden_global_offset_y
      - .offset:         128
        .size:           8
        .value_kind:     hidden_global_offset_z
      - .offset:         136
        .size:           2
        .value_kind:     hidden_grid_dims
    .group_segment_fixed_size: 0
    .kernarg_segment_align: 8
    .kernarg_segment_size: 328
    .language:       OpenCL C
    .language_version:
      - 2
      - 0
    .max_flat_workgroup_size: 1024
    .name:           _ZN2at6native12_GLOBAL__N_119compute_grad_weightIN3c108BFloat16EiEEvPKT0_PKT_S7_llS7_PKlPNS_14AccumulateTypeIS8_Lb1EE4typeEl
    .private_segment_fixed_size: 0
    .sgpr_count:     32
    .sgpr_spill_count: 0
    .symbol:         _ZN2at6native12_GLOBAL__N_119compute_grad_weightIN3c108BFloat16EiEEvPKT0_PKT_S7_llS7_PKlPNS_14AccumulateTypeIS8_Lb1EE4typeEl.kd
    .uniform_work_group_size: 1
    .uses_dynamic_stack: false
    .vgpr_count:     20
    .vgpr_spill_count: 0
    .wavefront_size: 64
  - .agpr_count:     0
    .args:
      - .address_space:  global
        .offset:         0
        .size:           8
        .value_kind:     global_buffer
      - .address_space:  global
        .offset:         8
        .size:           8
        .value_kind:     global_buffer
      - .offset:         16
        .size:           8
        .value_kind:     by_value
      - .address_space:  global
        .offset:         24
        .size:           8
        .value_kind:     global_buffer
      - .address_space:  global
        .offset:         32
        .size:           8
        .value_kind:     global_buffer
      - .address_space:  global
        .offset:         40
        .size:           8
        .value_kind:     global_buffer
      - .address_space:  global
        .offset:         48
        .size:           8
        .value_kind:     global_buffer
      - .address_space:  global
        .offset:         56
        .size:           8
        .value_kind:     global_buffer
      - .offset:         64
        .size:           8
        .value_kind:     by_value
      - .offset:         72
        .size:           8
        .value_kind:     by_value
      - .offset:         80
        .size:           4
        .value_kind:     hidden_block_count_x
      - .offset:         84
        .size:           4
        .value_kind:     hidden_block_count_y
      - .offset:         88
        .size:           4
        .value_kind:     hidden_block_count_z
      - .offset:         92
        .size:           2
        .value_kind:     hidden_group_size_x
      - .offset:         94
        .size:           2
        .value_kind:     hidden_group_size_y
      - .offset:         96
        .size:           2
        .value_kind:     hidden_group_size_z
      - .offset:         98
        .size:           2
        .value_kind:     hidden_remainder_x
      - .offset:         100
        .size:           2
        .value_kind:     hidden_remainder_y
      - .offset:         102
        .size:           2
        .value_kind:     hidden_remainder_z
      - .offset:         120
        .size:           8
        .value_kind:     hidden_global_offset_x
      - .offset:         128
        .size:           8
        .value_kind:     hidden_global_offset_y
      - .offset:         136
        .size:           8
        .value_kind:     hidden_global_offset_z
      - .offset:         144
        .size:           2
        .value_kind:     hidden_grid_dims
    .group_segment_fixed_size: 0
    .kernarg_segment_align: 8
    .kernarg_segment_size: 336
    .language:       OpenCL C
    .language_version:
      - 2
      - 0
    .max_flat_workgroup_size: 1024
    .name:           _ZN2at6native12_GLOBAL__N_115sum_and_scatterIN3c108BFloat16EiEEvPKT0_PT_lS7_PKlPKNS_14AccumulateTypeIS8_Lb1EE4typeES7_SB_ll
    .private_segment_fixed_size: 0
    .sgpr_count:     34
    .sgpr_spill_count: 0
    .symbol:         _ZN2at6native12_GLOBAL__N_115sum_and_scatterIN3c108BFloat16EiEEvPKT0_PT_lS7_PKlPKNS_14AccumulateTypeIS8_Lb1EE4typeES7_SB_ll.kd
    .uniform_work_group_size: 1
    .uses_dynamic_stack: false
    .vgpr_count:     14
    .vgpr_spill_count: 0
    .wavefront_size: 64
  - .agpr_count:     0
    .args:
      - .address_space:  global
        .offset:         0
        .size:           8
        .value_kind:     global_buffer
      - .address_space:  global
        .offset:         8
        .size:           8
        .value_kind:     global_buffer
      - .address_space:  global
        .offset:         16
        .size:           8
        .value_kind:     global_buffer
      - .offset:         24
        .size:           8
        .value_kind:     by_value
      - .offset:         32
        .size:           4
        .value_kind:     hidden_block_count_x
      - .offset:         36
        .size:           4
        .value_kind:     hidden_block_count_y
      - .offset:         40
        .size:           4
        .value_kind:     hidden_block_count_z
      - .offset:         44
        .size:           2
        .value_kind:     hidden_group_size_x
      - .offset:         46
        .size:           2
        .value_kind:     hidden_group_size_y
      - .offset:         48
        .size:           2
        .value_kind:     hidden_group_size_z
      - .offset:         50
        .size:           2
        .value_kind:     hidden_remainder_x
      - .offset:         52
        .size:           2
        .value_kind:     hidden_remainder_y
      - .offset:         54
        .size:           2
        .value_kind:     hidden_remainder_z
      - .offset:         72
        .size:           8
        .value_kind:     hidden_global_offset_x
      - .offset:         80
        .size:           8
        .value_kind:     hidden_global_offset_y
      - .offset:         88
        .size:           8
        .value_kind:     hidden_global_offset_z
      - .offset:         96
        .size:           2
        .value_kind:     hidden_grid_dims
    .group_segment_fixed_size: 0
    .kernarg_segment_align: 8
    .kernarg_segment_size: 288
    .language:       OpenCL C
    .language_version:
      - 2
      - 0
    .max_flat_workgroup_size: 1024
    .name:           _ZN2at6native12_GLOBAL__N_124krn_partials_per_segmentIlEEvPT_PKS3_PKll
    .private_segment_fixed_size: 0
    .sgpr_count:     18
    .sgpr_spill_count: 0
    .symbol:         _ZN2at6native12_GLOBAL__N_124krn_partials_per_segmentIlEEvPT_PKS3_PKll.kd
    .uniform_work_group_size: 1
    .uses_dynamic_stack: false
    .vgpr_count:     15
    .vgpr_spill_count: 0
    .wavefront_size: 64
  - .agpr_count:     0
    .args:
      - .address_space:  global
        .offset:         0
        .size:           8
        .value_kind:     global_buffer
      - .address_space:  global
        .offset:         8
        .size:           8
        .value_kind:     global_buffer
      - .address_space:  global
        .offset:         16
        .size:           8
        .value_kind:     global_buffer
      - .address_space:  global
        .offset:         24
        .size:           8
        .value_kind:     global_buffer
    .group_segment_fixed_size: 0
    .kernarg_segment_align: 8
    .kernarg_segment_size: 32
    .language:       OpenCL C
    .language_version:
      - 2
      - 0
    .max_flat_workgroup_size: 1024
    .name:           _ZN2at6native12_GLOBAL__N_131compute_num_of_partial_segmentsIlEEvPKT_S5_PKlPl
    .private_segment_fixed_size: 0
    .sgpr_count:     14
    .sgpr_spill_count: 0
    .symbol:         _ZN2at6native12_GLOBAL__N_131compute_num_of_partial_segmentsIlEEvPKT_S5_PKlPl.kd
    .uniform_work_group_size: 1
    .uses_dynamic_stack: false
    .vgpr_count:     3
    .vgpr_spill_count: 0
    .wavefront_size: 64
  - .agpr_count:     0
    .args:
      - .address_space:  global
        .offset:         0
        .size:           8
        .value_kind:     global_buffer
      - .address_space:  global
        .offset:         8
        .size:           8
        .value_kind:     global_buffer
      - .address_space:  global
        .offset:         16
        .size:           8
        .value_kind:     global_buffer
      - .address_space:  global
        .offset:         24
        .size:           8
        .value_kind:     global_buffer
      - .address_space:  global
        .offset:         32
        .size:           8
        .value_kind:     global_buffer
      - .offset:         40
        .size:           4
        .value_kind:     hidden_block_count_x
      - .offset:         44
        .size:           4
        .value_kind:     hidden_block_count_y
      - .offset:         48
        .size:           4
        .value_kind:     hidden_block_count_z
      - .offset:         52
        .size:           2
        .value_kind:     hidden_group_size_x
      - .offset:         54
        .size:           2
        .value_kind:     hidden_group_size_y
      - .offset:         56
        .size:           2
        .value_kind:     hidden_group_size_z
      - .offset:         58
        .size:           2
        .value_kind:     hidden_remainder_x
      - .offset:         60
        .size:           2
        .value_kind:     hidden_remainder_y
      - .offset:         62
        .size:           2
        .value_kind:     hidden_remainder_z
      - .offset:         80
        .size:           8
        .value_kind:     hidden_global_offset_x
      - .offset:         88
        .size:           8
        .value_kind:     hidden_global_offset_y
      - .offset:         96
        .size:           8
        .value_kind:     hidden_global_offset_z
      - .offset:         104
        .size:           2
        .value_kind:     hidden_grid_dims
    .group_segment_fixed_size: 0
    .kernarg_segment_align: 8
    .kernarg_segment_size: 296
    .language:       OpenCL C
    .language_version:
      - 2
      - 0
    .max_flat_workgroup_size: 1024
    .name:           _ZN2at6native12_GLOBAL__N_126krn_partial_segment_offsetIlEEvPT_PKS3_S6_S6_PKl
    .private_segment_fixed_size: 0
    .sgpr_count:     14
    .sgpr_spill_count: 0
    .symbol:         _ZN2at6native12_GLOBAL__N_126krn_partial_segment_offsetIlEEvPT_PKS3_S6_S6_PKl.kd
    .uniform_work_group_size: 1
    .uses_dynamic_stack: false
    .vgpr_count:     10
    .vgpr_spill_count: 0
    .wavefront_size: 64
  - .agpr_count:     0
    .args:
      - .address_space:  global
        .offset:         0
        .size:           8
        .value_kind:     global_buffer
      - .address_space:  global
        .offset:         8
        .size:           8
        .value_kind:     global_buffer
      - .address_space:  global
        .offset:         16
        .size:           8
        .value_kind:     global_buffer
      - .address_space:  global
        .offset:         24
        .size:           8
        .value_kind:     global_buffer
      - .offset:         32
        .size:           4
        .value_kind:     hidden_block_count_x
      - .offset:         36
        .size:           4
        .value_kind:     hidden_block_count_y
      - .offset:         40
        .size:           4
        .value_kind:     hidden_block_count_z
      - .offset:         44
        .size:           2
        .value_kind:     hidden_group_size_x
      - .offset:         46
        .size:           2
        .value_kind:     hidden_group_size_y
      - .offset:         48
        .size:           2
        .value_kind:     hidden_group_size_z
      - .offset:         50
        .size:           2
        .value_kind:     hidden_remainder_x
      - .offset:         52
        .size:           2
        .value_kind:     hidden_remainder_y
      - .offset:         54
        .size:           2
        .value_kind:     hidden_remainder_z
      - .offset:         72
        .size:           8
        .value_kind:     hidden_global_offset_x
      - .offset:         80
        .size:           8
        .value_kind:     hidden_global_offset_y
      - .offset:         88
        .size:           8
        .value_kind:     hidden_global_offset_z
      - .offset:         96
        .size:           2
        .value_kind:     hidden_grid_dims
    .group_segment_fixed_size: 0
    .kernarg_segment_align: 8
    .kernarg_segment_size: 288
    .language:       OpenCL C
    .language_version:
      - 2
      - 0
    .max_flat_workgroup_size: 1024
    .name:           _ZN2at6native12_GLOBAL__N_126krn_partial_to_segment_idxIlEEvPT_PKS3_S6_PKl
    .private_segment_fixed_size: 0
    .sgpr_count:     18
    .sgpr_spill_count: 0
    .symbol:         _ZN2at6native12_GLOBAL__N_126krn_partial_to_segment_idxIlEEvPT_PKS3_S6_PKl.kd
    .uniform_work_group_size: 1
    .uses_dynamic_stack: false
    .vgpr_count:     8
    .vgpr_spill_count: 0
    .wavefront_size: 64
  - .agpr_count:     0
    .args:
      - .address_space:  global
        .offset:         0
        .size:           8
        .value_kind:     global_buffer
      - .address_space:  global
        .offset:         8
        .size:           8
        .value_kind:     global_buffer
      - .address_space:  global
        .offset:         16
        .size:           8
        .value_kind:     global_buffer
      - .offset:         24
        .size:           8
        .value_kind:     by_value
      - .offset:         32
        .size:           8
        .value_kind:     by_value
      - .address_space:  global
        .offset:         40
        .size:           8
        .value_kind:     global_buffer
      - .address_space:  global
        .offset:         48
        .size:           8
        .value_kind:     global_buffer
      - .address_space:  global
        .offset:         56
        .size:           8
        .value_kind:     global_buffer
      - .address_space:  global
        .offset:         64
        .size:           8
        .value_kind:     global_buffer
      - .address_space:  global
        .offset:         72
        .size:           8
        .value_kind:     global_buffer
      - .address_space:  global
        .offset:         80
        .size:           8
        .value_kind:     global_buffer
      - .offset:         88
        .size:           8
        .value_kind:     by_value
      - .offset:         96
        .size:           8
        .value_kind:     by_value
      - .offset:         104
        .size:           4
        .value_kind:     hidden_block_count_x
      - .offset:         108
        .size:           4
        .value_kind:     hidden_block_count_y
      - .offset:         112
        .size:           4
        .value_kind:     hidden_block_count_z
      - .offset:         116
        .size:           2
        .value_kind:     hidden_group_size_x
      - .offset:         118
        .size:           2
        .value_kind:     hidden_group_size_y
      - .offset:         120
        .size:           2
        .value_kind:     hidden_group_size_z
      - .offset:         122
        .size:           2
        .value_kind:     hidden_remainder_x
      - .offset:         124
        .size:           2
        .value_kind:     hidden_remainder_y
      - .offset:         126
        .size:           2
        .value_kind:     hidden_remainder_z
      - .offset:         144
        .size:           8
        .value_kind:     hidden_global_offset_x
      - .offset:         152
        .size:           8
        .value_kind:     hidden_global_offset_y
      - .offset:         160
        .size:           8
        .value_kind:     hidden_global_offset_z
      - .offset:         168
        .size:           2
        .value_kind:     hidden_grid_dims
    .group_segment_fixed_size: 0
    .kernarg_segment_align: 8
    .kernarg_segment_size: 360
    .language:       OpenCL C
    .language_version:
      - 2
      - 0
    .max_flat_workgroup_size: 1024
    .name:           _ZN2at6native12_GLOBAL__N_137compute_grad_weight_atomic_accumulateIddlEEvPKT1_PKT_S5_llS5_PKlS5_S5_S5_PT0_ll
    .private_segment_fixed_size: 0
    .sgpr_count:     34
    .sgpr_spill_count: 0
    .symbol:         _ZN2at6native12_GLOBAL__N_137compute_grad_weight_atomic_accumulateIddlEEvPKT1_PKT_S5_llS5_PKlS5_S5_S5_PT0_ll.kd
    .uniform_work_group_size: 1
    .uses_dynamic_stack: false
    .vgpr_count:     28
    .vgpr_spill_count: 0
    .wavefront_size: 64
  - .agpr_count:     0
    .args:
      - .address_space:  global
        .offset:         0
        .size:           8
        .value_kind:     global_buffer
      - .address_space:  global
        .offset:         8
        .size:           8
        .value_kind:     global_buffer
      - .address_space:  global
        .offset:         16
        .size:           8
        .value_kind:     global_buffer
      - .address_space:  global
        .offset:         24
        .size:           8
        .value_kind:     global_buffer
      - .offset:         32
        .size:           8
        .value_kind:     by_value
      - .offset:         40
        .size:           8
        .value_kind:     by_value
      - .offset:         48
        .size:           4
        .value_kind:     by_value
      - .address_space:  global
        .offset:         56
        .size:           8
        .value_kind:     global_buffer
      - .address_space:  global
        .offset:         64
        .size:           8
        .value_kind:     global_buffer
      - .offset:         72
        .size:           8
        .value_kind:     by_value
      - .address_space:  global
        .offset:         80
        .size:           8
        .value_kind:     global_buffer
      - .address_space:  global
        .offset:         88
        .size:           8
        .value_kind:     global_buffer
      - .address_space:  global
        .offset:         96
        .size:           8
        .value_kind:     global_buffer
      - .offset:         104
        .size:           8
        .value_kind:     by_value
      - .offset:         112
        .size:           4
        .value_kind:     hidden_block_count_x
      - .offset:         116
        .size:           4
        .value_kind:     hidden_block_count_y
      - .offset:         120
        .size:           4
        .value_kind:     hidden_block_count_z
      - .offset:         124
        .size:           2
        .value_kind:     hidden_group_size_x
      - .offset:         126
        .size:           2
        .value_kind:     hidden_group_size_y
      - .offset:         128
        .size:           2
        .value_kind:     hidden_group_size_z
      - .offset:         130
        .size:           2
        .value_kind:     hidden_remainder_x
      - .offset:         132
        .size:           2
        .value_kind:     hidden_remainder_y
      - .offset:         134
        .size:           2
        .value_kind:     hidden_remainder_z
      - .offset:         152
        .size:           8
        .value_kind:     hidden_global_offset_x
      - .offset:         160
        .size:           8
        .value_kind:     hidden_global_offset_y
      - .offset:         168
        .size:           8
        .value_kind:     hidden_global_offset_z
      - .offset:         176
        .size:           2
        .value_kind:     hidden_grid_dims
    .group_segment_fixed_size: 0
    .kernarg_segment_align: 8
    .kernarg_segment_size: 368
    .language:       OpenCL C
    .language_version:
      - 2
      - 0
    .max_flat_workgroup_size: 1024
    .name:           _ZN2at6native12_GLOBAL__N_124compute_grad_weight_bagsIdlEEvPKT0_PKT_S5_S5_lliS5_S8_lS5_PKlPNS_14AccumulateTypeIS6_Lb1EE4typeEl
    .private_segment_fixed_size: 0
    .sgpr_count:     34
    .sgpr_spill_count: 0
    .symbol:         _ZN2at6native12_GLOBAL__N_124compute_grad_weight_bagsIdlEEvPKT0_PKT_S5_S5_lliS5_S8_lS5_PKlPNS_14AccumulateTypeIS6_Lb1EE4typeEl.kd
    .uniform_work_group_size: 1
    .uses_dynamic_stack: false
    .vgpr_count:     32
    .vgpr_spill_count: 0
    .wavefront_size: 64
  - .agpr_count:     0
    .args:
      - .address_space:  global
        .offset:         0
        .size:           8
        .value_kind:     global_buffer
      - .address_space:  global
        .offset:         8
        .size:           8
        .value_kind:     global_buffer
      - .address_space:  global
        .offset:         16
        .size:           8
        .value_kind:     global_buffer
      - .offset:         24
        .size:           8
        .value_kind:     by_value
      - .offset:         32
        .size:           8
        .value_kind:     by_value
      - .address_space:  global
        .offset:         40
        .size:           8
        .value_kind:     global_buffer
      - .address_space:  global
        .offset:         48
        .size:           8
        .value_kind:     global_buffer
      - .address_space:  global
        .offset:         56
        .size:           8
        .value_kind:     global_buffer
      - .offset:         64
        .size:           8
        .value_kind:     by_value
      - .offset:         72
        .size:           4
        .value_kind:     hidden_block_count_x
      - .offset:         76
        .size:           4
        .value_kind:     hidden_block_count_y
      - .offset:         80
        .size:           4
        .value_kind:     hidden_block_count_z
      - .offset:         84
        .size:           2
        .value_kind:     hidden_group_size_x
      - .offset:         86
        .size:           2
        .value_kind:     hidden_group_size_y
      - .offset:         88
        .size:           2
        .value_kind:     hidden_group_size_z
      - .offset:         90
        .size:           2
        .value_kind:     hidden_remainder_x
      - .offset:         92
        .size:           2
        .value_kind:     hidden_remainder_y
      - .offset:         94
        .size:           2
        .value_kind:     hidden_remainder_z
      - .offset:         112
        .size:           8
        .value_kind:     hidden_global_offset_x
      - .offset:         120
        .size:           8
        .value_kind:     hidden_global_offset_y
      - .offset:         128
        .size:           8
        .value_kind:     hidden_global_offset_z
      - .offset:         136
        .size:           2
        .value_kind:     hidden_grid_dims
    .group_segment_fixed_size: 0
    .kernarg_segment_align: 8
    .kernarg_segment_size: 328
    .language:       OpenCL C
    .language_version:
      - 2
      - 0
    .max_flat_workgroup_size: 1024
    .name:           _ZN2at6native12_GLOBAL__N_119compute_grad_weightIdlEEvPKT0_PKT_S5_llS5_PKlPNS_14AccumulateTypeIS6_Lb1EE4typeEl
    .private_segment_fixed_size: 0
    .sgpr_count:     32
    .sgpr_spill_count: 0
    .symbol:         _ZN2at6native12_GLOBAL__N_119compute_grad_weightIdlEEvPKT0_PKT_S5_llS5_PKlPNS_14AccumulateTypeIS6_Lb1EE4typeEl.kd
    .uniform_work_group_size: 1
    .uses_dynamic_stack: false
    .vgpr_count:     28
    .vgpr_spill_count: 0
    .wavefront_size: 64
  - .agpr_count:     0
    .args:
      - .address_space:  global
        .offset:         0
        .size:           8
        .value_kind:     global_buffer
      - .address_space:  global
        .offset:         8
        .size:           8
        .value_kind:     global_buffer
      - .offset:         16
        .size:           8
        .value_kind:     by_value
      - .address_space:  global
        .offset:         24
        .size:           8
        .value_kind:     global_buffer
      - .address_space:  global
        .offset:         32
        .size:           8
        .value_kind:     global_buffer
      - .address_space:  global
        .offset:         40
        .size:           8
        .value_kind:     global_buffer
      - .address_space:  global
        .offset:         48
        .size:           8
        .value_kind:     global_buffer
      - .address_space:  global
        .offset:         56
        .size:           8
        .value_kind:     global_buffer
      - .offset:         64
        .size:           8
        .value_kind:     by_value
      - .offset:         72
        .size:           8
        .value_kind:     by_value
      - .offset:         80
        .size:           4
        .value_kind:     hidden_block_count_x
      - .offset:         84
        .size:           4
        .value_kind:     hidden_block_count_y
      - .offset:         88
        .size:           4
        .value_kind:     hidden_block_count_z
      - .offset:         92
        .size:           2
        .value_kind:     hidden_group_size_x
      - .offset:         94
        .size:           2
        .value_kind:     hidden_group_size_y
      - .offset:         96
        .size:           2
        .value_kind:     hidden_group_size_z
      - .offset:         98
        .size:           2
        .value_kind:     hidden_remainder_x
      - .offset:         100
        .size:           2
        .value_kind:     hidden_remainder_y
      - .offset:         102
        .size:           2
        .value_kind:     hidden_remainder_z
      - .offset:         120
        .size:           8
        .value_kind:     hidden_global_offset_x
      - .offset:         128
        .size:           8
        .value_kind:     hidden_global_offset_y
      - .offset:         136
        .size:           8
        .value_kind:     hidden_global_offset_z
      - .offset:         144
        .size:           2
        .value_kind:     hidden_grid_dims
    .group_segment_fixed_size: 0
    .kernarg_segment_align: 8
    .kernarg_segment_size: 336
    .language:       OpenCL C
    .language_version:
      - 2
      - 0
    .max_flat_workgroup_size: 1024
    .name:           _ZN2at6native12_GLOBAL__N_115sum_and_scatterIdlEEvPKT0_PT_lS5_PKlPKNS_14AccumulateTypeIS6_Lb1EE4typeES5_S9_ll
    .private_segment_fixed_size: 0
    .sgpr_count:     34
    .sgpr_spill_count: 0
    .symbol:         _ZN2at6native12_GLOBAL__N_115sum_and_scatterIdlEEvPKT0_PT_lS5_PKlPKNS_14AccumulateTypeIS6_Lb1EE4typeES5_S9_ll.kd
    .uniform_work_group_size: 1
    .uses_dynamic_stack: false
    .vgpr_count:     14
    .vgpr_spill_count: 0
    .wavefront_size: 64
  - .agpr_count:     0
    .args:
      - .address_space:  global
        .offset:         0
        .size:           8
        .value_kind:     global_buffer
      - .address_space:  global
        .offset:         8
        .size:           8
        .value_kind:     global_buffer
      - .address_space:  global
        .offset:         16
        .size:           8
        .value_kind:     global_buffer
      - .offset:         24
        .size:           8
        .value_kind:     by_value
      - .offset:         32
        .size:           8
        .value_kind:     by_value
      - .address_space:  global
        .offset:         40
        .size:           8
        .value_kind:     global_buffer
      - .address_space:  global
        .offset:         48
        .size:           8
        .value_kind:     global_buffer
      - .address_space:  global
        .offset:         56
        .size:           8
        .value_kind:     global_buffer
      - .address_space:  global
        .offset:         64
        .size:           8
        .value_kind:     global_buffer
      - .address_space:  global
        .offset:         72
        .size:           8
        .value_kind:     global_buffer
      - .address_space:  global
        .offset:         80
        .size:           8
        .value_kind:     global_buffer
      - .offset:         88
        .size:           8
        .value_kind:     by_value
      - .offset:         96
        .size:           8
        .value_kind:     by_value
      - .offset:         104
        .size:           4
        .value_kind:     hidden_block_count_x
      - .offset:         108
        .size:           4
        .value_kind:     hidden_block_count_y
      - .offset:         112
        .size:           4
        .value_kind:     hidden_block_count_z
      - .offset:         116
        .size:           2
        .value_kind:     hidden_group_size_x
      - .offset:         118
        .size:           2
        .value_kind:     hidden_group_size_y
      - .offset:         120
        .size:           2
        .value_kind:     hidden_group_size_z
      - .offset:         122
        .size:           2
        .value_kind:     hidden_remainder_x
      - .offset:         124
        .size:           2
        .value_kind:     hidden_remainder_y
      - .offset:         126
        .size:           2
        .value_kind:     hidden_remainder_z
      - .offset:         144
        .size:           8
        .value_kind:     hidden_global_offset_x
      - .offset:         152
        .size:           8
        .value_kind:     hidden_global_offset_y
      - .offset:         160
        .size:           8
        .value_kind:     hidden_global_offset_z
      - .offset:         168
        .size:           2
        .value_kind:     hidden_grid_dims
    .group_segment_fixed_size: 0
    .kernarg_segment_align: 8
    .kernarg_segment_size: 360
    .language:       OpenCL C
    .language_version:
      - 2
      - 0
    .max_flat_workgroup_size: 1024
    .name:           _ZN2at6native12_GLOBAL__N_137compute_grad_weight_atomic_accumulateIfflEEvPKT1_PKT_S5_llS5_PKlS5_S5_S5_PT0_ll
    .private_segment_fixed_size: 0
    .sgpr_count:     34
    .sgpr_spill_count: 0
    .symbol:         _ZN2at6native12_GLOBAL__N_137compute_grad_weight_atomic_accumulateIfflEEvPKT1_PKT_S5_llS5_PKlS5_S5_S5_PT0_ll.kd
    .uniform_work_group_size: 1
    .uses_dynamic_stack: false
    .vgpr_count:     23
    .vgpr_spill_count: 0
    .wavefront_size: 64
  - .agpr_count:     0
    .args:
      - .address_space:  global
        .offset:         0
        .size:           8
        .value_kind:     global_buffer
      - .address_space:  global
        .offset:         8
        .size:           8
        .value_kind:     global_buffer
      - .address_space:  global
        .offset:         16
        .size:           8
        .value_kind:     global_buffer
      - .address_space:  global
        .offset:         24
        .size:           8
        .value_kind:     global_buffer
      - .offset:         32
        .size:           8
        .value_kind:     by_value
      - .offset:         40
        .size:           8
        .value_kind:     by_value
      - .offset:         48
        .size:           4
        .value_kind:     by_value
      - .address_space:  global
        .offset:         56
        .size:           8
        .value_kind:     global_buffer
      - .address_space:  global
        .offset:         64
        .size:           8
        .value_kind:     global_buffer
      - .offset:         72
        .size:           8
        .value_kind:     by_value
      - .address_space:  global
        .offset:         80
        .size:           8
        .value_kind:     global_buffer
      - .address_space:  global
        .offset:         88
        .size:           8
        .value_kind:     global_buffer
      - .address_space:  global
        .offset:         96
        .size:           8
        .value_kind:     global_buffer
      - .offset:         104
        .size:           8
        .value_kind:     by_value
      - .offset:         112
        .size:           4
        .value_kind:     hidden_block_count_x
      - .offset:         116
        .size:           4
        .value_kind:     hidden_block_count_y
      - .offset:         120
        .size:           4
        .value_kind:     hidden_block_count_z
      - .offset:         124
        .size:           2
        .value_kind:     hidden_group_size_x
      - .offset:         126
        .size:           2
        .value_kind:     hidden_group_size_y
      - .offset:         128
        .size:           2
        .value_kind:     hidden_group_size_z
      - .offset:         130
        .size:           2
        .value_kind:     hidden_remainder_x
      - .offset:         132
        .size:           2
        .value_kind:     hidden_remainder_y
      - .offset:         134
        .size:           2
        .value_kind:     hidden_remainder_z
      - .offset:         152
        .size:           8
        .value_kind:     hidden_global_offset_x
      - .offset:         160
        .size:           8
        .value_kind:     hidden_global_offset_y
      - .offset:         168
        .size:           8
        .value_kind:     hidden_global_offset_z
      - .offset:         176
        .size:           2
        .value_kind:     hidden_grid_dims
    .group_segment_fixed_size: 0
    .kernarg_segment_align: 8
    .kernarg_segment_size: 368
    .language:       OpenCL C
    .language_version:
      - 2
      - 0
    .max_flat_workgroup_size: 1024
    .name:           _ZN2at6native12_GLOBAL__N_124compute_grad_weight_bagsIflEEvPKT0_PKT_S5_S5_lliS5_S8_lS5_PKlPNS_14AccumulateTypeIS6_Lb1EE4typeEl
    .private_segment_fixed_size: 0
    .sgpr_count:     34
    .sgpr_spill_count: 0
    .symbol:         _ZN2at6native12_GLOBAL__N_124compute_grad_weight_bagsIflEEvPKT0_PKT_S5_S5_lliS5_S8_lS5_PKlPNS_14AccumulateTypeIS6_Lb1EE4typeEl.kd
    .uniform_work_group_size: 1
    .uses_dynamic_stack: false
    .vgpr_count:     30
    .vgpr_spill_count: 0
    .wavefront_size: 64
  - .agpr_count:     0
    .args:
      - .address_space:  global
        .offset:         0
        .size:           8
        .value_kind:     global_buffer
      - .address_space:  global
        .offset:         8
        .size:           8
        .value_kind:     global_buffer
      - .address_space:  global
        .offset:         16
        .size:           8
        .value_kind:     global_buffer
      - .offset:         24
        .size:           8
        .value_kind:     by_value
      - .offset:         32
        .size:           8
        .value_kind:     by_value
      - .address_space:  global
        .offset:         40
        .size:           8
        .value_kind:     global_buffer
      - .address_space:  global
        .offset:         48
        .size:           8
        .value_kind:     global_buffer
      - .address_space:  global
        .offset:         56
        .size:           8
        .value_kind:     global_buffer
      - .offset:         64
        .size:           8
        .value_kind:     by_value
      - .offset:         72
        .size:           4
        .value_kind:     hidden_block_count_x
      - .offset:         76
        .size:           4
        .value_kind:     hidden_block_count_y
      - .offset:         80
        .size:           4
        .value_kind:     hidden_block_count_z
      - .offset:         84
        .size:           2
        .value_kind:     hidden_group_size_x
      - .offset:         86
        .size:           2
        .value_kind:     hidden_group_size_y
      - .offset:         88
        .size:           2
        .value_kind:     hidden_group_size_z
      - .offset:         90
        .size:           2
        .value_kind:     hidden_remainder_x
      - .offset:         92
        .size:           2
        .value_kind:     hidden_remainder_y
      - .offset:         94
        .size:           2
        .value_kind:     hidden_remainder_z
      - .offset:         112
        .size:           8
        .value_kind:     hidden_global_offset_x
      - .offset:         120
        .size:           8
        .value_kind:     hidden_global_offset_y
      - .offset:         128
        .size:           8
        .value_kind:     hidden_global_offset_z
      - .offset:         136
        .size:           2
        .value_kind:     hidden_grid_dims
    .group_segment_fixed_size: 0
    .kernarg_segment_align: 8
    .kernarg_segment_size: 328
    .language:       OpenCL C
    .language_version:
      - 2
      - 0
    .max_flat_workgroup_size: 1024
    .name:           _ZN2at6native12_GLOBAL__N_119compute_grad_weightIflEEvPKT0_PKT_S5_llS5_PKlPNS_14AccumulateTypeIS6_Lb1EE4typeEl
    .private_segment_fixed_size: 0
    .sgpr_count:     32
    .sgpr_spill_count: 0
    .symbol:         _ZN2at6native12_GLOBAL__N_119compute_grad_weightIflEEvPKT0_PKT_S5_llS5_PKlPNS_14AccumulateTypeIS6_Lb1EE4typeEl.kd
    .uniform_work_group_size: 1
    .uses_dynamic_stack: false
    .vgpr_count:     21
    .vgpr_spill_count: 0
    .wavefront_size: 64
  - .agpr_count:     0
    .args:
      - .address_space:  global
        .offset:         0
        .size:           8
        .value_kind:     global_buffer
      - .address_space:  global
        .offset:         8
        .size:           8
        .value_kind:     global_buffer
      - .offset:         16
        .size:           8
        .value_kind:     by_value
      - .address_space:  global
        .offset:         24
        .size:           8
        .value_kind:     global_buffer
      - .address_space:  global
        .offset:         32
        .size:           8
        .value_kind:     global_buffer
      - .address_space:  global
        .offset:         40
        .size:           8
        .value_kind:     global_buffer
      - .address_space:  global
        .offset:         48
        .size:           8
        .value_kind:     global_buffer
      - .address_space:  global
        .offset:         56
        .size:           8
        .value_kind:     global_buffer
      - .offset:         64
        .size:           8
        .value_kind:     by_value
      - .offset:         72
        .size:           8
        .value_kind:     by_value
      - .offset:         80
        .size:           4
        .value_kind:     hidden_block_count_x
      - .offset:         84
        .size:           4
        .value_kind:     hidden_block_count_y
      - .offset:         88
        .size:           4
        .value_kind:     hidden_block_count_z
      - .offset:         92
        .size:           2
        .value_kind:     hidden_group_size_x
      - .offset:         94
        .size:           2
        .value_kind:     hidden_group_size_y
      - .offset:         96
        .size:           2
        .value_kind:     hidden_group_size_z
      - .offset:         98
        .size:           2
        .value_kind:     hidden_remainder_x
      - .offset:         100
        .size:           2
        .value_kind:     hidden_remainder_y
      - .offset:         102
        .size:           2
        .value_kind:     hidden_remainder_z
      - .offset:         120
        .size:           8
        .value_kind:     hidden_global_offset_x
      - .offset:         128
        .size:           8
        .value_kind:     hidden_global_offset_y
      - .offset:         136
        .size:           8
        .value_kind:     hidden_global_offset_z
      - .offset:         144
        .size:           2
        .value_kind:     hidden_grid_dims
    .group_segment_fixed_size: 0
    .kernarg_segment_align: 8
    .kernarg_segment_size: 336
    .language:       OpenCL C
    .language_version:
      - 2
      - 0
    .max_flat_workgroup_size: 1024
    .name:           _ZN2at6native12_GLOBAL__N_115sum_and_scatterIflEEvPKT0_PT_lS5_PKlPKNS_14AccumulateTypeIS6_Lb1EE4typeES5_S9_ll
    .private_segment_fixed_size: 0
    .sgpr_count:     34
    .sgpr_spill_count: 0
    .symbol:         _ZN2at6native12_GLOBAL__N_115sum_and_scatterIflEEvPKT0_PT_lS5_PKlPKNS_14AccumulateTypeIS6_Lb1EE4typeES5_S9_ll.kd
    .uniform_work_group_size: 1
    .uses_dynamic_stack: false
    .vgpr_count:     14
    .vgpr_spill_count: 0
    .wavefront_size: 64
  - .agpr_count:     0
    .args:
      - .address_space:  global
        .offset:         0
        .size:           8
        .value_kind:     global_buffer
      - .address_space:  global
        .offset:         8
        .size:           8
        .value_kind:     global_buffer
      - .address_space:  global
        .offset:         16
        .size:           8
        .value_kind:     global_buffer
      - .offset:         24
        .size:           8
        .value_kind:     by_value
      - .offset:         32
        .size:           8
        .value_kind:     by_value
      - .address_space:  global
        .offset:         40
        .size:           8
        .value_kind:     global_buffer
      - .address_space:  global
        .offset:         48
        .size:           8
        .value_kind:     global_buffer
      - .address_space:  global
        .offset:         56
        .size:           8
        .value_kind:     global_buffer
      - .address_space:  global
        .offset:         64
        .size:           8
        .value_kind:     global_buffer
      - .address_space:  global
        .offset:         72
        .size:           8
        .value_kind:     global_buffer
      - .address_space:  global
        .offset:         80
        .size:           8
        .value_kind:     global_buffer
      - .offset:         88
        .size:           8
        .value_kind:     by_value
      - .offset:         96
        .size:           8
        .value_kind:     by_value
      - .offset:         104
        .size:           4
        .value_kind:     hidden_block_count_x
      - .offset:         108
        .size:           4
        .value_kind:     hidden_block_count_y
      - .offset:         112
        .size:           4
        .value_kind:     hidden_block_count_z
      - .offset:         116
        .size:           2
        .value_kind:     hidden_group_size_x
      - .offset:         118
        .size:           2
        .value_kind:     hidden_group_size_y
      - .offset:         120
        .size:           2
        .value_kind:     hidden_group_size_z
      - .offset:         122
        .size:           2
        .value_kind:     hidden_remainder_x
      - .offset:         124
        .size:           2
        .value_kind:     hidden_remainder_y
      - .offset:         126
        .size:           2
        .value_kind:     hidden_remainder_z
      - .offset:         144
        .size:           8
        .value_kind:     hidden_global_offset_x
      - .offset:         152
        .size:           8
        .value_kind:     hidden_global_offset_y
      - .offset:         160
        .size:           8
        .value_kind:     hidden_global_offset_z
      - .offset:         168
        .size:           2
        .value_kind:     hidden_grid_dims
    .group_segment_fixed_size: 0
    .kernarg_segment_align: 8
    .kernarg_segment_size: 360
    .language:       OpenCL C
    .language_version:
      - 2
      - 0
    .max_flat_workgroup_size: 1024
    .name:           _ZN2at6native12_GLOBAL__N_137compute_grad_weight_atomic_accumulateIN3c104HalfEflEEvPKT1_PKT_S7_llS7_PKlS7_S7_S7_PT0_ll
    .private_segment_fixed_size: 0
    .sgpr_count:     34
    .sgpr_spill_count: 0
    .symbol:         _ZN2at6native12_GLOBAL__N_137compute_grad_weight_atomic_accumulateIN3c104HalfEflEEvPKT1_PKT_S7_llS7_PKlS7_S7_S7_PT0_ll.kd
    .uniform_work_group_size: 1
    .uses_dynamic_stack: false
    .vgpr_count:     23
    .vgpr_spill_count: 0
    .wavefront_size: 64
  - .agpr_count:     0
    .args:
      - .address_space:  global
        .offset:         0
        .size:           8
        .value_kind:     global_buffer
      - .address_space:  global
        .offset:         8
        .size:           8
        .value_kind:     global_buffer
      - .address_space:  global
        .offset:         16
        .size:           8
        .value_kind:     global_buffer
      - .address_space:  global
        .offset:         24
        .size:           8
        .value_kind:     global_buffer
      - .offset:         32
        .size:           8
        .value_kind:     by_value
      - .offset:         40
        .size:           8
        .value_kind:     by_value
      - .offset:         48
        .size:           4
        .value_kind:     by_value
      - .address_space:  global
        .offset:         56
        .size:           8
        .value_kind:     global_buffer
      - .address_space:  global
        .offset:         64
        .size:           8
        .value_kind:     global_buffer
      - .offset:         72
        .size:           8
        .value_kind:     by_value
      - .address_space:  global
        .offset:         80
        .size:           8
        .value_kind:     global_buffer
      - .address_space:  global
        .offset:         88
        .size:           8
        .value_kind:     global_buffer
      - .address_space:  global
        .offset:         96
        .size:           8
        .value_kind:     global_buffer
      - .offset:         104
        .size:           8
        .value_kind:     by_value
      - .offset:         112
        .size:           4
        .value_kind:     hidden_block_count_x
      - .offset:         116
        .size:           4
        .value_kind:     hidden_block_count_y
      - .offset:         120
        .size:           4
        .value_kind:     hidden_block_count_z
      - .offset:         124
        .size:           2
        .value_kind:     hidden_group_size_x
      - .offset:         126
        .size:           2
        .value_kind:     hidden_group_size_y
      - .offset:         128
        .size:           2
        .value_kind:     hidden_group_size_z
      - .offset:         130
        .size:           2
        .value_kind:     hidden_remainder_x
      - .offset:         132
        .size:           2
        .value_kind:     hidden_remainder_y
      - .offset:         134
        .size:           2
        .value_kind:     hidden_remainder_z
      - .offset:         152
        .size:           8
        .value_kind:     hidden_global_offset_x
      - .offset:         160
        .size:           8
        .value_kind:     hidden_global_offset_y
      - .offset:         168
        .size:           8
        .value_kind:     hidden_global_offset_z
      - .offset:         176
        .size:           2
        .value_kind:     hidden_grid_dims
    .group_segment_fixed_size: 0
    .kernarg_segment_align: 8
    .kernarg_segment_size: 368
    .language:       OpenCL C
    .language_version:
      - 2
      - 0
    .max_flat_workgroup_size: 1024
    .name:           _ZN2at6native12_GLOBAL__N_124compute_grad_weight_bagsIN3c104HalfElEEvPKT0_PKT_S7_S7_lliS7_SA_lS7_PKlPNS_14AccumulateTypeIS8_Lb1EE4typeEl
    .private_segment_fixed_size: 0
    .sgpr_count:     34
    .sgpr_spill_count: 0
    .symbol:         _ZN2at6native12_GLOBAL__N_124compute_grad_weight_bagsIN3c104HalfElEEvPKT0_PKT_S7_S7_lliS7_SA_lS7_PKlPNS_14AccumulateTypeIS8_Lb1EE4typeEl.kd
    .uniform_work_group_size: 1
    .uses_dynamic_stack: false
    .vgpr_count:     30
    .vgpr_spill_count: 0
    .wavefront_size: 64
  - .agpr_count:     0
    .args:
      - .address_space:  global
        .offset:         0
        .size:           8
        .value_kind:     global_buffer
      - .address_space:  global
        .offset:         8
        .size:           8
        .value_kind:     global_buffer
      - .address_space:  global
        .offset:         16
        .size:           8
        .value_kind:     global_buffer
      - .offset:         24
        .size:           8
        .value_kind:     by_value
      - .offset:         32
        .size:           8
        .value_kind:     by_value
      - .address_space:  global
        .offset:         40
        .size:           8
        .value_kind:     global_buffer
      - .address_space:  global
        .offset:         48
        .size:           8
        .value_kind:     global_buffer
      - .address_space:  global
        .offset:         56
        .size:           8
        .value_kind:     global_buffer
      - .offset:         64
        .size:           8
        .value_kind:     by_value
      - .offset:         72
        .size:           4
        .value_kind:     hidden_block_count_x
      - .offset:         76
        .size:           4
        .value_kind:     hidden_block_count_y
      - .offset:         80
        .size:           4
        .value_kind:     hidden_block_count_z
      - .offset:         84
        .size:           2
        .value_kind:     hidden_group_size_x
      - .offset:         86
        .size:           2
        .value_kind:     hidden_group_size_y
      - .offset:         88
        .size:           2
        .value_kind:     hidden_group_size_z
      - .offset:         90
        .size:           2
        .value_kind:     hidden_remainder_x
      - .offset:         92
        .size:           2
        .value_kind:     hidden_remainder_y
      - .offset:         94
        .size:           2
        .value_kind:     hidden_remainder_z
      - .offset:         112
        .size:           8
        .value_kind:     hidden_global_offset_x
      - .offset:         120
        .size:           8
        .value_kind:     hidden_global_offset_y
      - .offset:         128
        .size:           8
        .value_kind:     hidden_global_offset_z
      - .offset:         136
        .size:           2
        .value_kind:     hidden_grid_dims
    .group_segment_fixed_size: 0
    .kernarg_segment_align: 8
    .kernarg_segment_size: 328
    .language:       OpenCL C
    .language_version:
      - 2
      - 0
    .max_flat_workgroup_size: 1024
    .name:           _ZN2at6native12_GLOBAL__N_119compute_grad_weightIN3c104HalfElEEvPKT0_PKT_S7_llS7_PKlPNS_14AccumulateTypeIS8_Lb1EE4typeEl
    .private_segment_fixed_size: 0
    .sgpr_count:     32
    .sgpr_spill_count: 0
    .symbol:         _ZN2at6native12_GLOBAL__N_119compute_grad_weightIN3c104HalfElEEvPKT0_PKT_S7_llS7_PKlPNS_14AccumulateTypeIS8_Lb1EE4typeEl.kd
    .uniform_work_group_size: 1
    .uses_dynamic_stack: false
    .vgpr_count:     21
    .vgpr_spill_count: 0
    .wavefront_size: 64
  - .agpr_count:     0
    .args:
      - .address_space:  global
        .offset:         0
        .size:           8
        .value_kind:     global_buffer
      - .address_space:  global
        .offset:         8
        .size:           8
        .value_kind:     global_buffer
      - .offset:         16
        .size:           8
        .value_kind:     by_value
      - .address_space:  global
        .offset:         24
        .size:           8
        .value_kind:     global_buffer
      - .address_space:  global
        .offset:         32
        .size:           8
        .value_kind:     global_buffer
      - .address_space:  global
        .offset:         40
        .size:           8
        .value_kind:     global_buffer
      - .address_space:  global
        .offset:         48
        .size:           8
        .value_kind:     global_buffer
      - .address_space:  global
        .offset:         56
        .size:           8
        .value_kind:     global_buffer
      - .offset:         64
        .size:           8
        .value_kind:     by_value
      - .offset:         72
        .size:           8
        .value_kind:     by_value
      - .offset:         80
        .size:           4
        .value_kind:     hidden_block_count_x
      - .offset:         84
        .size:           4
        .value_kind:     hidden_block_count_y
      - .offset:         88
        .size:           4
        .value_kind:     hidden_block_count_z
      - .offset:         92
        .size:           2
        .value_kind:     hidden_group_size_x
      - .offset:         94
        .size:           2
        .value_kind:     hidden_group_size_y
      - .offset:         96
        .size:           2
        .value_kind:     hidden_group_size_z
      - .offset:         98
        .size:           2
        .value_kind:     hidden_remainder_x
      - .offset:         100
        .size:           2
        .value_kind:     hidden_remainder_y
      - .offset:         102
        .size:           2
        .value_kind:     hidden_remainder_z
      - .offset:         120
        .size:           8
        .value_kind:     hidden_global_offset_x
      - .offset:         128
        .size:           8
        .value_kind:     hidden_global_offset_y
      - .offset:         136
        .size:           8
        .value_kind:     hidden_global_offset_z
      - .offset:         144
        .size:           2
        .value_kind:     hidden_grid_dims
    .group_segment_fixed_size: 0
    .kernarg_segment_align: 8
    .kernarg_segment_size: 336
    .language:       OpenCL C
    .language_version:
      - 2
      - 0
    .max_flat_workgroup_size: 1024
    .name:           _ZN2at6native12_GLOBAL__N_115sum_and_scatterIN3c104HalfElEEvPKT0_PT_lS7_PKlPKNS_14AccumulateTypeIS8_Lb1EE4typeES7_SB_ll
    .private_segment_fixed_size: 0
    .sgpr_count:     34
    .sgpr_spill_count: 0
    .symbol:         _ZN2at6native12_GLOBAL__N_115sum_and_scatterIN3c104HalfElEEvPKT0_PT_lS7_PKlPKNS_14AccumulateTypeIS8_Lb1EE4typeES7_SB_ll.kd
    .uniform_work_group_size: 1
    .uses_dynamic_stack: false
    .vgpr_count:     14
    .vgpr_spill_count: 0
    .wavefront_size: 64
  - .agpr_count:     0
    .args:
      - .address_space:  global
        .offset:         0
        .size:           8
        .value_kind:     global_buffer
      - .address_space:  global
        .offset:         8
        .size:           8
        .value_kind:     global_buffer
      - .address_space:  global
        .offset:         16
        .size:           8
        .value_kind:     global_buffer
      - .offset:         24
        .size:           8
        .value_kind:     by_value
      - .offset:         32
        .size:           8
        .value_kind:     by_value
      - .address_space:  global
        .offset:         40
        .size:           8
        .value_kind:     global_buffer
      - .address_space:  global
        .offset:         48
        .size:           8
        .value_kind:     global_buffer
      - .address_space:  global
        .offset:         56
        .size:           8
        .value_kind:     global_buffer
      - .address_space:  global
        .offset:         64
        .size:           8
        .value_kind:     global_buffer
      - .address_space:  global
        .offset:         72
        .size:           8
        .value_kind:     global_buffer
      - .address_space:  global
        .offset:         80
        .size:           8
        .value_kind:     global_buffer
      - .offset:         88
        .size:           8
        .value_kind:     by_value
      - .offset:         96
        .size:           8
        .value_kind:     by_value
      - .offset:         104
        .size:           4
        .value_kind:     hidden_block_count_x
      - .offset:         108
        .size:           4
        .value_kind:     hidden_block_count_y
      - .offset:         112
        .size:           4
        .value_kind:     hidden_block_count_z
      - .offset:         116
        .size:           2
        .value_kind:     hidden_group_size_x
      - .offset:         118
        .size:           2
        .value_kind:     hidden_group_size_y
      - .offset:         120
        .size:           2
        .value_kind:     hidden_group_size_z
      - .offset:         122
        .size:           2
        .value_kind:     hidden_remainder_x
      - .offset:         124
        .size:           2
        .value_kind:     hidden_remainder_y
      - .offset:         126
        .size:           2
        .value_kind:     hidden_remainder_z
      - .offset:         144
        .size:           8
        .value_kind:     hidden_global_offset_x
      - .offset:         152
        .size:           8
        .value_kind:     hidden_global_offset_y
      - .offset:         160
        .size:           8
        .value_kind:     hidden_global_offset_z
      - .offset:         168
        .size:           2
        .value_kind:     hidden_grid_dims
    .group_segment_fixed_size: 0
    .kernarg_segment_align: 8
    .kernarg_segment_size: 360
    .language:       OpenCL C
    .language_version:
      - 2
      - 0
    .max_flat_workgroup_size: 1024
    .name:           _ZN2at6native12_GLOBAL__N_137compute_grad_weight_atomic_accumulateIN3c108BFloat16EflEEvPKT1_PKT_S7_llS7_PKlS7_S7_S7_PT0_ll
    .private_segment_fixed_size: 0
    .sgpr_count:     34
    .sgpr_spill_count: 0
    .symbol:         _ZN2at6native12_GLOBAL__N_137compute_grad_weight_atomic_accumulateIN3c108BFloat16EflEEvPKT1_PKT_S7_llS7_PKlS7_S7_S7_PT0_ll.kd
    .uniform_work_group_size: 1
    .uses_dynamic_stack: false
    .vgpr_count:     23
    .vgpr_spill_count: 0
    .wavefront_size: 64
  - .agpr_count:     0
    .args:
      - .address_space:  global
        .offset:         0
        .size:           8
        .value_kind:     global_buffer
      - .address_space:  global
        .offset:         8
        .size:           8
        .value_kind:     global_buffer
      - .address_space:  global
        .offset:         16
        .size:           8
        .value_kind:     global_buffer
      - .address_space:  global
        .offset:         24
        .size:           8
        .value_kind:     global_buffer
      - .offset:         32
        .size:           8
        .value_kind:     by_value
      - .offset:         40
        .size:           8
        .value_kind:     by_value
      - .offset:         48
        .size:           4
        .value_kind:     by_value
      - .address_space:  global
        .offset:         56
        .size:           8
        .value_kind:     global_buffer
      - .address_space:  global
        .offset:         64
        .size:           8
        .value_kind:     global_buffer
      - .offset:         72
        .size:           8
        .value_kind:     by_value
      - .address_space:  global
        .offset:         80
        .size:           8
        .value_kind:     global_buffer
      - .address_space:  global
        .offset:         88
        .size:           8
        .value_kind:     global_buffer
      - .address_space:  global
        .offset:         96
        .size:           8
        .value_kind:     global_buffer
      - .offset:         104
        .size:           8
        .value_kind:     by_value
      - .offset:         112
        .size:           4
        .value_kind:     hidden_block_count_x
      - .offset:         116
        .size:           4
        .value_kind:     hidden_block_count_y
      - .offset:         120
        .size:           4
        .value_kind:     hidden_block_count_z
      - .offset:         124
        .size:           2
        .value_kind:     hidden_group_size_x
      - .offset:         126
        .size:           2
        .value_kind:     hidden_group_size_y
      - .offset:         128
        .size:           2
        .value_kind:     hidden_group_size_z
      - .offset:         130
        .size:           2
        .value_kind:     hidden_remainder_x
      - .offset:         132
        .size:           2
        .value_kind:     hidden_remainder_y
      - .offset:         134
        .size:           2
        .value_kind:     hidden_remainder_z
      - .offset:         152
        .size:           8
        .value_kind:     hidden_global_offset_x
      - .offset:         160
        .size:           8
        .value_kind:     hidden_global_offset_y
      - .offset:         168
        .size:           8
        .value_kind:     hidden_global_offset_z
      - .offset:         176
        .size:           2
        .value_kind:     hidden_grid_dims
    .group_segment_fixed_size: 0
    .kernarg_segment_align: 8
    .kernarg_segment_size: 368
    .language:       OpenCL C
    .language_version:
      - 2
      - 0
    .max_flat_workgroup_size: 1024
    .name:           _ZN2at6native12_GLOBAL__N_124compute_grad_weight_bagsIN3c108BFloat16ElEEvPKT0_PKT_S7_S7_lliS7_SA_lS7_PKlPNS_14AccumulateTypeIS8_Lb1EE4typeEl
    .private_segment_fixed_size: 0
    .sgpr_count:     34
    .sgpr_spill_count: 0
    .symbol:         _ZN2at6native12_GLOBAL__N_124compute_grad_weight_bagsIN3c108BFloat16ElEEvPKT0_PKT_S7_S7_lliS7_SA_lS7_PKlPNS_14AccumulateTypeIS8_Lb1EE4typeEl.kd
    .uniform_work_group_size: 1
    .uses_dynamic_stack: false
    .vgpr_count:     30
    .vgpr_spill_count: 0
    .wavefront_size: 64
  - .agpr_count:     0
    .args:
      - .address_space:  global
        .offset:         0
        .size:           8
        .value_kind:     global_buffer
      - .address_space:  global
        .offset:         8
        .size:           8
        .value_kind:     global_buffer
      - .address_space:  global
        .offset:         16
        .size:           8
        .value_kind:     global_buffer
      - .offset:         24
        .size:           8
        .value_kind:     by_value
      - .offset:         32
        .size:           8
        .value_kind:     by_value
      - .address_space:  global
        .offset:         40
        .size:           8
        .value_kind:     global_buffer
      - .address_space:  global
        .offset:         48
        .size:           8
        .value_kind:     global_buffer
      - .address_space:  global
        .offset:         56
        .size:           8
        .value_kind:     global_buffer
      - .offset:         64
        .size:           8
        .value_kind:     by_value
      - .offset:         72
        .size:           4
        .value_kind:     hidden_block_count_x
      - .offset:         76
        .size:           4
        .value_kind:     hidden_block_count_y
      - .offset:         80
        .size:           4
        .value_kind:     hidden_block_count_z
      - .offset:         84
        .size:           2
        .value_kind:     hidden_group_size_x
      - .offset:         86
        .size:           2
        .value_kind:     hidden_group_size_y
      - .offset:         88
        .size:           2
        .value_kind:     hidden_group_size_z
      - .offset:         90
        .size:           2
        .value_kind:     hidden_remainder_x
      - .offset:         92
        .size:           2
        .value_kind:     hidden_remainder_y
      - .offset:         94
        .size:           2
        .value_kind:     hidden_remainder_z
      - .offset:         112
        .size:           8
        .value_kind:     hidden_global_offset_x
      - .offset:         120
        .size:           8
        .value_kind:     hidden_global_offset_y
      - .offset:         128
        .size:           8
        .value_kind:     hidden_global_offset_z
      - .offset:         136
        .size:           2
        .value_kind:     hidden_grid_dims
    .group_segment_fixed_size: 0
    .kernarg_segment_align: 8
    .kernarg_segment_size: 328
    .language:       OpenCL C
    .language_version:
      - 2
      - 0
    .max_flat_workgroup_size: 1024
    .name:           _ZN2at6native12_GLOBAL__N_119compute_grad_weightIN3c108BFloat16ElEEvPKT0_PKT_S7_llS7_PKlPNS_14AccumulateTypeIS8_Lb1EE4typeEl
    .private_segment_fixed_size: 0
    .sgpr_count:     32
    .sgpr_spill_count: 0
    .symbol:         _ZN2at6native12_GLOBAL__N_119compute_grad_weightIN3c108BFloat16ElEEvPKT0_PKT_S7_llS7_PKlPNS_14AccumulateTypeIS8_Lb1EE4typeEl.kd
    .uniform_work_group_size: 1
    .uses_dynamic_stack: false
    .vgpr_count:     21
    .vgpr_spill_count: 0
    .wavefront_size: 64
  - .agpr_count:     0
    .args:
      - .address_space:  global
        .offset:         0
        .size:           8
        .value_kind:     global_buffer
      - .address_space:  global
        .offset:         8
        .size:           8
        .value_kind:     global_buffer
      - .offset:         16
        .size:           8
        .value_kind:     by_value
      - .address_space:  global
        .offset:         24
        .size:           8
        .value_kind:     global_buffer
      - .address_space:  global
        .offset:         32
        .size:           8
        .value_kind:     global_buffer
      - .address_space:  global
        .offset:         40
        .size:           8
        .value_kind:     global_buffer
      - .address_space:  global
        .offset:         48
        .size:           8
        .value_kind:     global_buffer
      - .address_space:  global
        .offset:         56
        .size:           8
        .value_kind:     global_buffer
      - .offset:         64
        .size:           8
        .value_kind:     by_value
      - .offset:         72
        .size:           8
        .value_kind:     by_value
      - .offset:         80
        .size:           4
        .value_kind:     hidden_block_count_x
      - .offset:         84
        .size:           4
        .value_kind:     hidden_block_count_y
      - .offset:         88
        .size:           4
        .value_kind:     hidden_block_count_z
      - .offset:         92
        .size:           2
        .value_kind:     hidden_group_size_x
      - .offset:         94
        .size:           2
        .value_kind:     hidden_group_size_y
      - .offset:         96
        .size:           2
        .value_kind:     hidden_group_size_z
      - .offset:         98
        .size:           2
        .value_kind:     hidden_remainder_x
      - .offset:         100
        .size:           2
        .value_kind:     hidden_remainder_y
      - .offset:         102
        .size:           2
        .value_kind:     hidden_remainder_z
      - .offset:         120
        .size:           8
        .value_kind:     hidden_global_offset_x
      - .offset:         128
        .size:           8
        .value_kind:     hidden_global_offset_y
      - .offset:         136
        .size:           8
        .value_kind:     hidden_global_offset_z
      - .offset:         144
        .size:           2
        .value_kind:     hidden_grid_dims
    .group_segment_fixed_size: 0
    .kernarg_segment_align: 8
    .kernarg_segment_size: 336
    .language:       OpenCL C
    .language_version:
      - 2
      - 0
    .max_flat_workgroup_size: 1024
    .name:           _ZN2at6native12_GLOBAL__N_115sum_and_scatterIN3c108BFloat16ElEEvPKT0_PT_lS7_PKlPKNS_14AccumulateTypeIS8_Lb1EE4typeES7_SB_ll
    .private_segment_fixed_size: 0
    .sgpr_count:     34
    .sgpr_spill_count: 0
    .symbol:         _ZN2at6native12_GLOBAL__N_115sum_and_scatterIN3c108BFloat16ElEEvPKT0_PT_lS7_PKlPKNS_14AccumulateTypeIS8_Lb1EE4typeES7_SB_ll.kd
    .uniform_work_group_size: 1
    .uses_dynamic_stack: false
    .vgpr_count:     14
    .vgpr_spill_count: 0
    .wavefront_size: 64
amdhsa.target:   amdgcn-amd-amdhsa--gfx942
amdhsa.version:
  - 1
  - 2
...

	.end_amdgpu_metadata
